;; amdgpu-corpus repo=ROCm/rocFFT kind=compiled arch=gfx950 opt=O3
	.text
	.amdgcn_target "amdgcn-amd-amdhsa--gfx950"
	.amdhsa_code_object_version 6
	.protected	bluestein_single_fwd_len900_dim1_sp_op_CI_CI ; -- Begin function bluestein_single_fwd_len900_dim1_sp_op_CI_CI
	.globl	bluestein_single_fwd_len900_dim1_sp_op_CI_CI
	.p2align	8
	.type	bluestein_single_fwd_len900_dim1_sp_op_CI_CI,@function
bluestein_single_fwd_len900_dim1_sp_op_CI_CI: ; @bluestein_single_fwd_len900_dim1_sp_op_CI_CI
; %bb.0:
	s_load_dwordx4 s[16:19], s[0:1], 0x28
	v_mul_u32_u24_e32 v1, 0x2d9, v0
	v_lshrrev_b32_e32 v1, 16, v1
	v_mov_b32_e32 v67, 0
	v_lshl_add_u32 v74, s2, 1, v1
	v_mov_b32_e32 v75, v67
	s_waitcnt lgkmcnt(0)
	v_cmp_gt_u64_e32 vcc, s[16:17], v[74:75]
	s_and_saveexec_b64 s[2:3], vcc
	s_cbranch_execz .LBB0_18
; %bb.1:
	s_load_dwordx4 s[4:7], s[0:1], 0x18
	s_load_dwordx4 s[8:11], s[0:1], 0x0
	v_mul_lo_u16_e32 v4, 0x5a, v1
	v_sub_u16_e32 v66, v0, v4
	v_mov_b32_e32 v2, s18
	s_waitcnt lgkmcnt(0)
	s_load_dwordx4 s[12:15], s[4:5], 0x0
	v_mov_b32_e32 v3, s19
	s_mov_b32 s16, 0xbf737871
	s_mov_b32 s18, 0x3f4f1bbd
	;; [unrolled: 1-line block ×3, first 2 shown]
	s_waitcnt lgkmcnt(0)
	v_mad_u64_u32 v[4:5], s[2:3], s14, v74, 0
	v_mov_b32_e32 v0, v5
	v_mad_u64_u32 v[6:7], s[2:3], s15, v74, v[0:1]
	v_mov_b32_e32 v5, v6
	;; [unrolled: 2-line block ×4, first 2 shown]
	v_lshl_add_u64 v[2:3], v[4:5], 3, v[2:3]
	v_lshl_add_u64 v[2:3], v[6:7], 3, v[2:3]
	v_mov_b32_e32 v0, 0x2d0
	global_load_dwordx2 v[4:5], v[2:3], off
	v_mad_u64_u32 v[2:3], s[2:3], s12, v0, v[2:3]
	s_mul_i32 s4, s13, 0x2d0
	v_add_u32_e32 v3, s4, v3
	global_load_dwordx2 v[10:11], v[2:3], off
	v_mad_u64_u32 v[2:3], s[2:3], s12, v0, v[2:3]
	v_add_u32_e32 v3, s4, v3
	v_mad_u64_u32 v[12:13], s[2:3], s12, v0, v[2:3]
	v_add_u32_e32 v13, s4, v13
	v_mad_u64_u32 v[14:15], s[2:3], s12, v0, v[12:13]
	v_lshlrev_b32_e32 v6, 3, v66
	v_add_u32_e32 v15, s4, v15
	global_load_dwordx2 v[86:87], v6, s[8:9]
	global_load_dwordx2 v[84:85], v6, s[8:9] offset:720
	global_load_dwordx2 v[82:83], v6, s[8:9] offset:1440
	;; [unrolled: 1-line block ×3, first 2 shown]
	global_load_dwordx2 v[18:19], v[2:3], off
	global_load_dwordx2 v[20:21], v[12:13], off
	;; [unrolled: 1-line block ×3, first 2 shown]
	v_mad_u64_u32 v[2:3], s[2:3], s12, v0, v[14:15]
	v_add_u32_e32 v3, s4, v3
	v_mov_b32_e32 v7, v67
	global_load_dwordx2 v[12:13], v[2:3], off
	global_load_dwordx2 v[80:81], v6, s[8:9] offset:2880
	global_load_dwordx2 v[76:77], v6, s[8:9] offset:3600
	v_mad_u64_u32 v[2:3], s[2:3], s12, v0, v[2:3]
	v_lshl_add_u64 v[8:9], s[8:9], 0, v[6:7]
	v_add_u32_e32 v3, s4, v3
	s_movk_i32 s2, 0x1000
	global_load_dwordx2 v[14:15], v[2:3], off
	v_add_co_u32_e32 v8, vcc, s2, v8
	v_mad_u64_u32 v[2:3], s[2:3], s12, v0, v[2:3]
	s_nop 0
	v_addc_co_u32_e32 v9, vcc, 0, v9, vcc
	v_add_u32_e32 v3, s4, v3
	global_load_dwordx2 v[72:73], v[8:9], off offset:224
	global_load_dwordx2 v[24:25], v[2:3], off
	global_load_dwordx2 v[70:71], v[8:9], off offset:944
	v_mad_u64_u32 v[2:3], s[2:3], s12, v0, v[2:3]
	v_add_u32_e32 v3, s4, v3
	global_load_dwordx2 v[26:27], v[2:3], off
	global_load_dwordx2 v[68:69], v[8:9], off offset:1664
	v_mad_u64_u32 v[2:3], s[2:3], s12, v0, v[2:3]
	v_add_u32_e32 v3, s4, v3
	global_load_dwordx2 v[64:65], v[8:9], off offset:2384
	global_load_dwordx2 v[28:29], v[2:3], off
	v_and_b32_e32 v0, 1, v1
	v_mov_b32_e32 v1, 0x384
	v_cmp_eq_u32_e32 vcc, 1, v0
	s_load_dwordx4 s[4:7], s[6:7], 0x0
	s_mov_b32 s14, 0x3f737871
	v_cndmask_b32_e32 v0, 0, v1, vcc
	v_lshlrev_b32_e32 v125, 3, v0
	v_add_u32_e32 v75, v125, v6
	v_add_u32_e32 v16, 0x400, v75
	;; [unrolled: 1-line block ×3, first 2 shown]
	s_mov_b32 s2, 0x3f167918
	s_mov_b32 s12, 0x3e9e377a
	;; [unrolled: 1-line block ×4, first 2 shown]
	v_cmp_gt_u16_e32 vcc, 30, v66
	s_waitcnt vmcnt(16)
	v_mul_f32_e32 v2, v11, v85
	v_mul_f32_e32 v0, v5, v87
	;; [unrolled: 1-line block ×4, first 2 shown]
	v_fmac_f32_e32 v0, v4, v86
	v_fma_f32 v1, v5, v86, -v1
	v_fmac_f32_e32 v2, v10, v84
	v_fma_f32 v3, v11, v84, -v3
	ds_write2_b64 v75, v[0:1], v[2:3] offset1:90
	s_waitcnt vmcnt(13)
	v_mul_f32_e32 v0, v19, v83
	v_mul_f32_e32 v1, v18, v83
	s_waitcnt vmcnt(12)
	v_mul_f32_e32 v2, v21, v79
	v_mul_f32_e32 v3, v20, v79
	v_fmac_f32_e32 v0, v18, v82
	v_fma_f32 v1, v19, v82, -v1
	v_fmac_f32_e32 v2, v20, v78
	v_fma_f32 v3, v21, v78, -v3
	ds_write2_b64 v16, v[0:1], v[2:3] offset0:52 offset1:142
	s_waitcnt vmcnt(9)
	v_mul_f32_e32 v0, v23, v81
	v_mul_f32_e32 v1, v22, v81
	s_waitcnt vmcnt(8)
	v_mul_f32_e32 v2, v13, v77
	v_mul_f32_e32 v3, v12, v77
	v_fmac_f32_e32 v0, v22, v80
	v_fma_f32 v1, v23, v80, -v1
	v_fmac_f32_e32 v2, v12, v76
	v_fma_f32 v3, v13, v76, -v3
	ds_write2_b64 v17, v[0:1], v[2:3] offset0:104 offset1:194
	s_waitcnt vmcnt(6)
	v_mul_f32_e32 v0, v15, v73
	v_mul_f32_e32 v1, v14, v73
	s_waitcnt vmcnt(4)
	v_mul_f32_e32 v2, v25, v71
	v_mul_f32_e32 v3, v24, v71
	v_fmac_f32_e32 v0, v14, v72
	v_fma_f32 v1, v15, v72, -v1
	v_fmac_f32_e32 v2, v24, v70
	v_fma_f32 v3, v25, v70, -v3
	v_add_u32_e32 v18, 0x1000, v75
	ds_write2_b64 v18, v[0:1], v[2:3] offset0:28 offset1:118
	s_waitcnt vmcnt(2)
	v_mul_f32_e32 v0, v27, v69
	v_mul_f32_e32 v1, v26, v69
	s_waitcnt vmcnt(0)
	v_mul_f32_e32 v2, v29, v65
	v_mul_f32_e32 v3, v28, v65
	v_fmac_f32_e32 v0, v26, v68
	v_fma_f32 v1, v27, v68, -v1
	v_fmac_f32_e32 v2, v28, v64
	v_fma_f32 v3, v29, v64, -v3
	v_add_u32_e32 v19, 0x1400, v75
	ds_write2_b64 v19, v[0:1], v[2:3] offset0:80 offset1:170
	s_waitcnt lgkmcnt(0)
	s_barrier
	ds_read2_b64 v[0:3], v75 offset1:90
	ds_read2_b64 v[4:7], v16 offset0:52 offset1:142
	ds_read2_b64 v[8:11], v19 offset0:80 offset1:170
	;; [unrolled: 1-line block ×4, first 2 shown]
	s_waitcnt lgkmcnt(0)
	v_pk_add_f32 v[24:25], v[0:1], v[4:5]
	v_pk_add_f32 v[26:27], v[2:3], v[6:7]
	v_pk_add_f32 v[34:35], v[6:7], v[10:11] neg_lo:[0,1] neg_hi:[0,1]
	v_pk_add_f32 v[36:37], v[6:7], v[10:11]
	v_pk_add_f32 v[38:39], v[14:15], v[6:7] neg_lo:[0,1] neg_hi:[0,1]
	v_pk_add_f32 v[40:41], v[6:7], v[14:15] neg_lo:[0,1] neg_hi:[0,1]
	v_pk_add_f32 v[6:7], v[24:25], v[12:13]
	v_pk_add_f32 v[24:25], v[26:27], v[14:15]
	v_pk_add_f32 v[28:29], v[4:5], v[8:9] neg_lo:[0,1] neg_hi:[0,1]
	v_pk_add_f32 v[30:31], v[4:5], v[12:13] neg_lo:[0,1] neg_hi:[0,1]
	v_pk_add_f32 v[32:33], v[4:5], v[8:9]
	v_pk_add_f32 v[4:5], v[12:13], v[4:5] neg_lo:[0,1] neg_hi:[0,1]
	v_pk_add_f32 v[26:27], v[12:13], v[20:21]
	v_pk_add_f32 v[12:13], v[12:13], v[20:21] neg_lo:[0,1] neg_hi:[0,1]
	v_pk_add_f32 v[42:43], v[14:15], v[22:23] neg_lo:[0,1] neg_hi:[0,1]
	v_pk_add_f32 v[6:7], v[6:7], v[20:21]
	v_pk_add_f32 v[24:25], v[24:25], v[22:23]
	v_pk_add_f32 v[44:45], v[8:9], v[20:21] neg_lo:[0,1] neg_hi:[0,1]
	v_pk_add_f32 v[20:21], v[20:21], v[8:9] neg_lo:[0,1] neg_hi:[0,1]
	v_pk_add_f32 v[14:15], v[14:15], v[22:23]
	v_pk_add_f32 v[46:47], v[22:23], v[10:11] neg_lo:[0,1] neg_hi:[0,1]
	v_pk_add_f32 v[22:23], v[10:11], v[22:23] neg_lo:[0,1] neg_hi:[0,1]
	v_pk_add_f32 v[10:11], v[24:25], v[10:11]
	v_pk_add_f32 v[4:5], v[4:5], v[20:21]
	v_pk_fma_f32 v[20:21], v[36:37], 0.5, v[2:3] op_sel_hi:[1,0,1] neg_lo:[1,0,0] neg_hi:[1,0,0]
	v_pk_mul_f32 v[24:25], v[42:43], s[14:15] op_sel_hi:[1,0]
	v_pk_add_f32 v[8:9], v[6:7], v[8:9]
	v_pk_add_f32 v[36:37], v[20:21], v[24:25] op_sel:[0,1] op_sel_hi:[1,0] neg_lo:[0,1] neg_hi:[0,1]
	v_pk_add_f32 v[20:21], v[20:21], v[24:25] op_sel:[0,1] op_sel_hi:[1,0]
	v_pk_mul_f32 v[24:25], v[34:35], s[2:3] op_sel_hi:[1,0]
	v_pk_add_f32 v[6:7], v[38:39], v[46:47]
	v_pk_add_f32 v[20:21], v[20:21], v[24:25] op_sel:[0,1] op_sel_hi:[1,0] neg_lo:[0,1] neg_hi:[0,1]
	v_pk_add_f32 v[24:25], v[36:37], v[24:25] op_sel:[0,1] op_sel_hi:[1,0]
	v_mov_b32_e32 v37, v21
	v_mov_b32_e32 v36, v24
	v_pk_fma_f32 v[36:37], v[6:7], s[12:13], v[36:37] op_sel_hi:[1,0,1]
	v_pk_fma_f32 v[32:33], v[32:33], 0.5, v[0:1] op_sel_hi:[1,0,1] neg_lo:[1,0,0] neg_hi:[1,0,0]
	v_pk_mul_f32 v[38:39], v[36:37], s[14:15] op_sel_hi:[1,0]
	v_mov_b32_e32 v21, v25
	v_pk_fma_f32 v[46:47], v[36:37], s[12:13], v[38:39] op_sel:[0,0,1] op_sel_hi:[1,0,0]
	v_pk_fma_f32 v[36:37], v[36:37], s[12:13], v[38:39] op_sel:[0,0,1] op_sel_hi:[1,0,0] neg_lo:[0,0,1] neg_hi:[0,0,1]
	v_pk_fma_f32 v[6:7], v[6:7], s[12:13], v[20:21] op_sel_hi:[1,0,1]
	v_mov_b32_e32 v47, v37
	v_pk_mul_f32 v[36:37], v[12:13], s[14:15] op_sel_hi:[1,0]
	v_pk_mul_f32 v[20:21], v[6:7], s[12:13] op_sel_hi:[1,0]
	v_pk_add_f32 v[38:39], v[32:33], v[36:37] op_sel:[0,1] op_sel_hi:[1,0] neg_lo:[0,1] neg_hi:[0,1]
	v_pk_add_f32 v[32:33], v[32:33], v[36:37] op_sel:[0,1] op_sel_hi:[1,0]
	v_pk_mul_f32 v[36:37], v[28:29], s[2:3] op_sel_hi:[1,0]
	v_pk_fma_f32 v[20:21], v[6:7], s[16:17], v[20:21] op_sel:[0,0,1] op_sel_hi:[1,1,0] neg_lo:[0,0,1] neg_hi:[0,0,1]
	v_pk_add_f32 v[32:33], v[32:33], v[36:37] op_sel:[0,1] op_sel_hi:[1,0] neg_lo:[0,1] neg_hi:[0,1]
	v_pk_add_f32 v[36:37], v[38:39], v[36:37] op_sel:[0,1] op_sel_hi:[1,0]
	v_mov_b32_e32 v7, v33
	v_mov_b32_e32 v6, v36
	;; [unrolled: 1-line block ×3, first 2 shown]
	v_pk_fma_f32 v[24:25], v[4:5], s[12:13], v[6:7] op_sel_hi:[1,0,1]
	v_pk_fma_f32 v[32:33], v[4:5], s[12:13], v[32:33] op_sel_hi:[1,0,1]
	v_mul_lo_u16_e32 v4, 10, v66
	v_lshl_add_u32 v122, v4, 3, v125
	v_pk_add_f32 v[4:5], v[24:25], v[46:47]
	v_pk_add_f32 v[6:7], v[32:33], v[20:21] op_sel:[0,1] op_sel_hi:[1,0]
	s_barrier
	ds_write_b128 v122, v[4:7] offset:16
	v_pk_fma_f32 v[0:1], v[26:27], 0.5, v[0:1] op_sel_hi:[1,0,1] neg_lo:[1,0,0] neg_hi:[1,0,0]
	v_pk_mul_f32 v[6:7], v[28:29], s[14:15] op_sel_hi:[1,0]
	v_pk_fma_f32 v[2:3], v[14:15], 0.5, v[2:3] op_sel_hi:[1,0,1] neg_lo:[1,0,0] neg_hi:[1,0,0]
	v_pk_add_f32 v[14:15], v[0:1], v[6:7] op_sel:[0,1] op_sel_hi:[1,0]
	v_pk_add_f32 v[0:1], v[0:1], v[6:7] op_sel:[0,1] op_sel_hi:[1,0] neg_lo:[0,1] neg_hi:[0,1]
	v_pk_mul_f32 v[6:7], v[12:13], s[2:3] op_sel_hi:[1,0]
	v_pk_add_f32 v[4:5], v[30:31], v[44:45]
	v_pk_add_f32 v[0:1], v[0:1], v[6:7] op_sel:[0,1] op_sel_hi:[1,0] neg_lo:[0,1] neg_hi:[0,1]
	v_pk_add_f32 v[6:7], v[14:15], v[6:7] op_sel:[0,1] op_sel_hi:[1,0]
	v_mov_b32_e32 v15, v1
	v_mov_b32_e32 v14, v6
	;; [unrolled: 1-line block ×3, first 2 shown]
	v_pk_fma_f32 v[14:15], v[4:5], s[12:13], v[14:15] op_sel_hi:[1,0,1]
	v_pk_fma_f32 v[4:5], v[4:5], s[12:13], v[0:1] op_sel_hi:[1,0,1]
	v_pk_mul_f32 v[0:1], v[34:35], s[14:15] op_sel_hi:[1,0]
	v_pk_add_f32 v[12:13], v[40:41], v[22:23]
	v_pk_add_f32 v[6:7], v[2:3], v[0:1] op_sel:[0,1] op_sel_hi:[1,0]
	v_pk_add_f32 v[2:3], v[2:3], v[0:1] op_sel:[0,1] op_sel_hi:[1,0] neg_lo:[0,1] neg_hi:[0,1]
	v_pk_mul_f32 v[22:23], v[42:43], s[2:3] op_sel_hi:[1,0]
	s_mov_b32 s3, s18
	v_pk_add_f32 v[6:7], v[22:23], v[6:7] op_sel:[1,0] op_sel_hi:[0,1]
	v_pk_add_f32 v[2:3], v[2:3], v[22:23] op_sel:[0,1] op_sel_hi:[1,0] neg_lo:[0,1] neg_hi:[0,1]
	v_pk_add_f32 v[0:1], v[8:9], v[10:11]
	v_pk_fma_f32 v[22:23], v[12:13], s[12:13], v[2:3] op_sel_hi:[1,0,1]
	v_mov_b32_e32 v3, v7
	v_pk_fma_f32 v[2:3], v[12:13], s[12:13], v[2:3] op_sel_hi:[1,0,1]
	v_pk_fma_f32 v[6:7], v[12:13], s[12:13], v[6:7] op_sel_hi:[1,0,1]
	v_pk_mul_f32 v[12:13], v[2:3], s[18:19] op_sel_hi:[1,0]
	s_mov_b32 s19, s2
	v_pk_fma_f32 v[12:13], v[2:3], s[20:21], v[12:13] op_sel:[0,0,1] op_sel_hi:[1,1,0] neg_lo:[0,0,1] neg_hi:[0,0,1]
	v_pk_mul_f32 v[2:3], v[6:7], s[18:19] op_sel_hi:[0,1]
	v_pk_fma_f32 v[6:7], v[22:23], s[2:3], v[2:3] op_sel:[1,0,0]
	v_pk_fma_f32 v[2:3], v[22:23], s[2:3], v[2:3] op_sel:[1,0,0] neg_lo:[0,0,1] neg_hi:[0,0,1]
	v_pk_add_f32 v[22:23], v[4:5], v[12:13] op_sel:[1,0] op_sel_hi:[0,1]
	v_mov_b32_e32 v7, v3
	v_pk_add_f32 v[2:3], v[14:15], v[6:7]
	ds_write_b128 v122, v[0:3]
	v_pk_add_f32 v[2:3], v[8:9], v[10:11] neg_lo:[0,1] neg_hi:[0,1]
	v_mov_b32_e32 v0, v23
	v_mov_b32_e32 v1, v22
	ds_write_b128 v122, v[0:3] offset:32
	v_pk_add_f32 v[0:1], v[14:15], v[6:7] neg_lo:[0,1] neg_hi:[0,1]
	v_pk_add_f32 v[2:3], v[24:25], v[46:47] neg_lo:[0,1] neg_hi:[0,1]
	v_pk_add_f32 v[4:5], v[4:5], v[12:13] op_sel:[1,0] op_sel_hi:[0,1] neg_lo:[0,1] neg_hi:[0,1]
	ds_write_b128 v122, v[0:3] offset:48
	v_pk_add_f32 v[0:1], v[32:33], v[20:21] op_sel:[0,1] op_sel_hi:[1,0] neg_lo:[0,1] neg_hi:[0,1]
	v_mov_b32_e32 v2, v5
	v_mov_b32_e32 v3, v4
	s_movk_i32 s3, 0xcd
	ds_write_b128 v122, v[0:3] offset:64
	v_mul_lo_u16_sdwa v0, v66, s3 dst_sel:DWORD dst_unused:UNUSED_PAD src0_sel:BYTE_0 src1_sel:DWORD
	v_lshrrev_b16_e32 v91, 11, v0
	v_mul_lo_u16_e32 v0, 10, v91
	v_sub_u16_e32 v0, v66, v0
	v_and_b32_e32 v93, 0xff, v0
	s_movk_i32 s3, 0x48
	v_mov_b64_e32 v[0:1], s[10:11]
	v_mad_u64_u32 v[20:21], s[22:23], v93, s3, v[0:1]
	s_waitcnt lgkmcnt(0)
	s_barrier
	global_load_dwordx4 v[0:3], v[20:21], off offset:16
	global_load_dwordx4 v[4:7], v[20:21], off
	global_load_dwordx4 v[8:11], v[20:21], off offset:32
	global_load_dwordx4 v[12:15], v[20:21], off offset:48
	global_load_dwordx2 v[88:89], v[20:21], off offset:64
	ds_read2_b64 v[20:23], v16 offset0:52 offset1:142
	s_waitcnt vmcnt(4)
	v_mov_b32_e32 v90, v0
	s_waitcnt vmcnt(3)
	v_mov_b32_e32 v102, v7
	s_waitcnt lgkmcnt(0)
	v_pk_mul_f32 v[24:25], v[20:21], v[102:103] op_sel_hi:[1,0]
	v_mov_b32_e32 v100, v3
	v_pk_fma_f32 v[28:29], v[20:21], v[6:7], v[24:25] op_sel:[0,0,1] op_sel_hi:[1,1,0] neg_lo:[0,0,1] neg_hi:[0,0,1]
	v_pk_fma_f32 v[30:31], v[20:21], v[6:7], v[24:25] op_sel:[0,0,1] op_sel_hi:[1,0,0]
	ds_read2_b64 v[24:27], v17 offset0:104 offset1:194
	v_pk_mul_f32 v[20:21], v[22:23], v[0:1] op_sel:[0,1]
	s_waitcnt vmcnt(2)
	v_mov_b32_e32 v94, v8
	v_pk_fma_f32 v[32:33], v[22:23], v[90:91], v[20:21] op_sel:[0,0,1] op_sel_hi:[1,1,0] neg_lo:[0,0,1] neg_hi:[0,0,1]
	v_pk_fma_f32 v[34:35], v[22:23], v[0:1], v[20:21] op_sel:[0,0,1] op_sel_hi:[1,0,0]
	s_waitcnt lgkmcnt(0)
	v_pk_mul_f32 v[20:21], v[24:25], v[100:101] op_sel_hi:[1,0]
	v_mov_b32_e32 v96, v11
	v_pk_fma_f32 v[36:37], v[24:25], v[2:3], v[20:21] op_sel:[0,0,1] op_sel_hi:[1,1,0] neg_lo:[0,0,1] neg_hi:[0,0,1]
	v_pk_fma_f32 v[38:39], v[24:25], v[2:3], v[20:21] op_sel:[0,0,1] op_sel_hi:[1,0,0]
	ds_read2_b64 v[20:23], v18 offset0:28 offset1:118
	v_pk_mul_f32 v[24:25], v[26:27], v[8:9] op_sel:[0,1]
	s_waitcnt vmcnt(1)
	v_mov_b32_e32 v92, v12
	v_pk_fma_f32 v[40:41], v[26:27], v[94:95], v[24:25] op_sel:[0,0,1] op_sel_hi:[1,1,0] neg_lo:[0,0,1] neg_hi:[0,0,1]
	v_pk_fma_f32 v[42:43], v[26:27], v[8:9], v[24:25] op_sel:[0,0,1] op_sel_hi:[1,0,0]
	s_waitcnt lgkmcnt(0)
	v_pk_mul_f32 v[24:25], v[20:21], v[96:97] op_sel_hi:[1,0]
	v_mov_b32_e32 v98, v15
	v_pk_fma_f32 v[44:45], v[20:21], v[10:11], v[24:25] op_sel:[0,0,1] op_sel_hi:[1,1,0] neg_lo:[0,0,1] neg_hi:[0,0,1]
	v_pk_fma_f32 v[46:47], v[20:21], v[10:11], v[24:25] op_sel:[0,0,1] op_sel_hi:[1,0,0]
	ds_read2_b64 v[24:27], v19 offset0:80 offset1:170
	v_pk_mul_f32 v[20:21], v[22:23], v[12:13] op_sel:[0,1]
	v_mov_b32_e32 v33, v35
	v_pk_fma_f32 v[48:49], v[22:23], v[92:93], v[20:21] op_sel:[0,0,1] op_sel_hi:[1,1,0] neg_lo:[0,0,1] neg_hi:[0,0,1]
	v_pk_fma_f32 v[50:51], v[22:23], v[12:13], v[20:21] op_sel:[0,0,1] op_sel_hi:[1,0,0]
	s_waitcnt lgkmcnt(0)
	v_pk_mul_f32 v[20:21], v[24:25], v[98:99] op_sel_hi:[1,0]
	s_waitcnt vmcnt(0)
	v_pk_mul_f32 v[54:55], v[26:27], v[88:89] op_sel:[0,1]
	v_pk_fma_f32 v[52:53], v[24:25], v[14:15], v[20:21] op_sel:[0,0,1] op_sel_hi:[1,1,0] neg_lo:[0,0,1] neg_hi:[0,0,1]
	v_pk_fma_f32 v[24:25], v[24:25], v[14:15], v[20:21] op_sel:[0,0,1] op_sel_hi:[1,0,0]
	ds_read2_b64 v[20:23], v75 offset1:90
	v_pk_fma_f32 v[56:57], v[26:27], v[88:89], v[54:55] op_sel:[0,0,1] op_sel_hi:[1,1,0] neg_lo:[0,0,1] neg_hi:[0,0,1]
	v_pk_fma_f32 v[26:27], v[26:27], v[88:89], v[54:55] op_sel:[0,0,1] op_sel_hi:[1,0,0]
	v_mov_b32_e32 v41, v43
	v_mov_b32_e32 v49, v51
	;; [unrolled: 1-line block ×4, first 2 shown]
	v_pk_add_f32 v[26:27], v[32:33], v[40:41] neg_lo:[0,1] neg_hi:[0,1]
	v_pk_add_f32 v[30:31], v[56:57], v[48:49] neg_lo:[0,1] neg_hi:[0,1]
	v_mov_b32_e32 v104, v4
	s_waitcnt lgkmcnt(0)
	v_pk_mul_f32 v[54:55], v[22:23], v[4:5] op_sel:[0,1]
	v_mov_b32_e32 v53, v25
	v_mov_b32_e32 v37, v39
	;; [unrolled: 1-line block ×3, first 2 shown]
	v_pk_add_f32 v[26:27], v[26:27], v[30:31]
	v_mov_b32_e32 v30, v39
	v_mov_b32_e32 v31, v36
	;; [unrolled: 1-line block ×4, first 2 shown]
	v_pk_fma_f32 v[58:59], v[22:23], v[104:105], v[54:55] op_sel:[0,0,1] op_sel_hi:[1,1,0] neg_lo:[0,0,1] neg_hi:[0,0,1]
	v_pk_fma_f32 v[22:23], v[22:23], v[4:5], v[54:55] op_sel:[0,0,1] op_sel_hi:[1,0,0]
	v_pk_add_f32 v[30:31], v[30:31], v[34:35] neg_lo:[0,1] neg_hi:[0,1]
	v_pk_add_f32 v[34:35], v[28:29], v[36:37] neg_lo:[0,1] neg_hi:[0,1]
	;; [unrolled: 1-line block ×3, first 2 shown]
	v_mov_b32_e32 v59, v23
	v_pk_add_f32 v[34:35], v[34:35], v[38:39]
	v_pk_add_f32 v[38:39], v[40:41], v[48:49]
	v_pk_add_f32 v[42:43], v[32:33], v[56:57] neg_lo:[0,1] neg_hi:[0,1]
	v_pk_fma_f32 v[38:39], v[38:39], 0.5, v[58:59] op_sel_hi:[1,0,1] neg_lo:[1,0,0] neg_hi:[1,0,0]
	v_pk_mul_f32 v[46:47], v[42:43], s[14:15] op_sel_hi:[1,0]
	v_pk_add_f32 v[22:23], v[36:37], v[44:45]
	v_pk_add_f32 v[50:51], v[38:39], v[46:47] op_sel:[0,1] op_sel_hi:[1,0] neg_lo:[0,1] neg_hi:[0,1]
	v_pk_add_f32 v[38:39], v[38:39], v[46:47] op_sel:[0,1] op_sel_hi:[1,0]
	v_pk_add_f32 v[46:47], v[40:41], v[48:49] neg_lo:[0,1] neg_hi:[0,1]
	v_pk_add_f32 v[24:25], v[28:29], v[52:53]
	v_pk_mul_f32 v[54:55], v[46:47], s[2:3] op_sel_hi:[1,0]
	s_mov_b32 s3, s20
	v_pk_add_f32 v[50:51], v[50:51], v[54:55] op_sel:[0,1] op_sel_hi:[1,0] neg_lo:[0,1] neg_hi:[0,1]
	v_pk_add_f32 v[38:39], v[54:55], v[38:39] op_sel:[1,0] op_sel_hi:[0,1]
	v_mov_b32_e32 v54, v38
	v_mov_b32_e32 v55, v51
	v_pk_fma_f32 v[54:55], v[26:27], s[12:13], v[54:55] op_sel_hi:[1,0,1]
	v_pk_fma_f32 v[22:23], v[22:23], 0.5, v[20:21] op_sel_hi:[1,0,1] neg_lo:[1,0,0] neg_hi:[1,0,0]
	v_pk_mul_f32 v[60:61], v[54:55], s[2:3] op_sel_hi:[1,0]
	v_pk_fma_f32 v[24:25], v[24:25], 0.5, v[20:21] op_sel_hi:[1,0,1] neg_lo:[1,0,0] neg_hi:[1,0,0]
	v_pk_fma_f32 v[62:63], v[54:55], s[18:19], v[60:61] op_sel:[0,0,1] op_sel_hi:[1,0,0]
	v_pk_fma_f32 v[54:55], v[54:55], s[18:19], v[60:61] op_sel:[0,0,1] op_sel_hi:[1,0,0] neg_lo:[0,0,1] neg_hi:[0,0,1]
	v_pk_add_f32 v[20:21], v[20:21], v[28:29]
	v_mov_b32_e32 v63, v55
	v_pk_add_f32 v[54:55], v[28:29], v[52:53] neg_lo:[0,1] neg_hi:[0,1]
	v_pk_add_f32 v[20:21], v[20:21], v[36:37]
	v_pk_mul_f32 v[60:61], v[54:55], s[14:15] op_sel_hi:[1,0]
	v_pk_add_f32 v[28:29], v[36:37], v[28:29] neg_lo:[0,1] neg_hi:[0,1]
	v_pk_add_f32 v[106:107], v[22:23], v[60:61] op_sel:[0,1] op_sel_hi:[1,0] neg_lo:[0,1] neg_hi:[0,1]
	v_pk_add_f32 v[22:23], v[22:23], v[60:61] op_sel:[0,1] op_sel_hi:[1,0]
	v_pk_add_f32 v[60:61], v[58:59], v[32:33]
	v_pk_add_f32 v[36:37], v[44:45], v[52:53] neg_lo:[0,1] neg_hi:[0,1]
	v_pk_add_f32 v[60:61], v[60:61], v[40:41]
	v_pk_add_f32 v[28:29], v[28:29], v[36:37]
	;; [unrolled: 1-line block ×3, first 2 shown]
	v_pk_add_f32 v[32:33], v[40:41], v[32:33] neg_lo:[0,1] neg_hi:[0,1]
	v_pk_add_f32 v[40:41], v[48:49], v[56:57] neg_lo:[0,1] neg_hi:[0,1]
	v_pk_fma_f32 v[22:23], v[30:31], s[2:3], v[22:23] op_sel_hi:[1,0,1]
	v_pk_fma_f32 v[106:107], v[30:31], s[2:3], v[106:107] op_sel_hi:[1,0,1] neg_lo:[1,0,0] neg_hi:[1,0,0]
	v_pk_add_f32 v[32:33], v[32:33], v[40:41]
	v_pk_fma_f32 v[40:41], v[30:31], s[14:15], v[24:25] op_sel_hi:[1,0,1] neg_lo:[1,0,0] neg_hi:[1,0,0]
	v_pk_fma_f32 v[24:25], v[30:31], s[14:15], v[24:25] op_sel_hi:[1,0,1]
	v_pk_mul_f32 v[30:31], v[54:55], s[2:3] op_sel_hi:[1,0]
	v_pk_fma_f32 v[36:37], v[36:37], 0.5, v[58:59] op_sel_hi:[1,0,1] neg_lo:[1,0,0] neg_hi:[1,0,0]
	v_pk_add_f32 v[24:25], v[24:25], v[30:31] op_sel:[0,1] op_sel_hi:[1,0] neg_lo:[0,1] neg_hi:[0,1]
	v_pk_add_f32 v[30:31], v[40:41], v[30:31] op_sel:[0,1] op_sel_hi:[1,0]
	v_pk_mul_f32 v[40:41], v[46:47], s[14:15] op_sel_hi:[1,0]
	v_pk_add_f32 v[20:21], v[20:21], v[44:45]
	v_pk_add_f32 v[44:45], v[36:37], v[40:41] op_sel:[0,1] op_sel_hi:[1,0] neg_lo:[0,1] neg_hi:[0,1]
	v_pk_add_f32 v[36:37], v[36:37], v[40:41] op_sel:[0,1] op_sel_hi:[1,0]
	v_pk_mul_f32 v[40:41], v[42:43], s[2:3] op_sel_hi:[1,0]
	v_mul_u32_u24_e32 v0, 0x64, v91
	v_pk_add_f32 v[36:37], v[36:37], v[40:41] op_sel:[0,1] op_sel_hi:[1,0] neg_lo:[0,1] neg_hi:[0,1]
	v_pk_add_f32 v[40:41], v[44:45], v[40:41] op_sel:[0,1] op_sel_hi:[1,0]
	v_mov_b32_e32 v43, v37
	v_mov_b32_e32 v42, v40
	v_pk_fma_f32 v[42:43], v[32:33], s[12:13], v[42:43] op_sel_hi:[1,0,1]
	v_mov_b32_e32 v37, v41
	v_pk_mul_f32 v[44:45], v[42:43], s[14:15] op_sel_hi:[1,0]
	v_add_u32_e32 v0, v0, v93
	v_pk_fma_f32 v[46:47], v[42:43], s[12:13], v[44:45] op_sel:[0,0,1] op_sel_hi:[1,0,0]
	v_pk_fma_f32 v[42:43], v[42:43], s[12:13], v[44:45] op_sel:[0,0,1] op_sel_hi:[1,0,0] neg_lo:[0,0,1] neg_hi:[0,0,1]
	v_lshl_add_u32 v123, v0, 3, v125
	v_mov_b32_e32 v47, v43
	v_mov_b32_e32 v42, v30
	;; [unrolled: 1-line block ×4, first 2 shown]
	v_pk_fma_f32 v[30:31], v[28:29], s[12:13], v[42:43] op_sel_hi:[1,0,1]
	v_pk_fma_f32 v[24:25], v[28:29], s[12:13], v[24:25] op_sel_hi:[1,0,1]
	;; [unrolled: 1-line block ×3, first 2 shown]
	s_nop 0
	v_pk_mul_f32 v[32:33], v[28:29], s[12:13] op_sel_hi:[1,0]
	s_barrier
	v_pk_fma_f32 v[28:29], v[28:29], s[16:17], v[32:33] op_sel:[0,0,1] op_sel_hi:[1,1,0] neg_lo:[0,0,1] neg_hi:[0,0,1]
	v_pk_add_f32 v[32:33], v[30:31], v[46:47]
	v_pk_add_f32 v[36:37], v[24:25], v[28:29] op_sel:[0,1] op_sel_hi:[1,0]
	ds_write2_b64 v123, v[32:33], v[36:37] offset0:20 offset1:30
	v_mov_b32_e32 v32, v39
	v_mov_b32_e32 v33, v50
	v_pk_mul_f32 v[26:27], v[26:27], s[12:13] op_sel_hi:[1,0]
	v_pk_add_f32 v[60:61], v[60:61], v[48:49]
	v_pk_add_f32 v[26:27], v[26:27], v[32:33] op_sel:[1,0] op_sel_hi:[0,1]
	v_mov_b32_e32 v51, v23
	v_pk_mul_f32 v[32:33], v[26:27], s[18:19] op_sel_hi:[1,0]
	v_mov_b32_e32 v50, v106
	v_pk_add_f32 v[20:21], v[20:21], v[52:53]
	v_pk_add_f32 v[60:61], v[60:61], v[56:57]
	v_mov_b32_e32 v23, v107
	v_pk_fma_f32 v[26:27], v[26:27], s[2:3], v[32:33] op_sel:[0,0,1] op_sel_hi:[1,1,0] neg_lo:[0,0,1] neg_hi:[0,0,1]
	v_pk_fma_f32 v[32:33], v[34:35], s[12:13], v[50:51] op_sel_hi:[1,0,1]
	v_pk_fma_f32 v[22:23], v[34:35], s[12:13], v[22:23] op_sel_hi:[1,0,1]
	v_pk_add_f32 v[108:109], v[20:21], v[60:61]
	v_pk_add_f32 v[20:21], v[20:21], v[60:61] neg_lo:[0,1] neg_hi:[0,1]
	v_pk_add_f32 v[34:35], v[32:33], v[26:27]
	v_pk_add_f32 v[110:111], v[22:23], v[62:63]
	ds_write2_b64 v123, v[34:35], v[20:21] offset0:40 offset1:50
	v_pk_add_f32 v[20:21], v[22:23], v[62:63] neg_lo:[0,1] neg_hi:[0,1]
	v_pk_add_f32 v[22:23], v[30:31], v[46:47] neg_lo:[0,1] neg_hi:[0,1]
	ds_write2_b64 v123, v[20:21], v[22:23] offset0:60 offset1:70
	v_pk_add_f32 v[50:51], v[32:33], v[26:27] neg_lo:[0,1] neg_hi:[0,1]
	v_pk_add_f32 v[20:21], v[24:25], v[28:29] op_sel:[0,1] op_sel_hi:[1,0] neg_lo:[0,1] neg_hi:[0,1]
	ds_write2_b64 v123, v[108:109], v[110:111] offset1:10
	ds_write2_b64 v123, v[20:21], v[50:51] offset0:80 offset1:90
	s_waitcnt lgkmcnt(0)
	s_barrier
	ds_read_b64 v[48:49], v75 offset:6240
	ds_read2_b64 v[32:35], v16 offset0:52 offset1:172
	ds_read2_b64 v[44:47], v18 offset0:88 offset1:178
	;; [unrolled: 1-line block ×3, first 2 shown]
	ds_read2_b64 v[40:43], v75 offset1:90
	s_load_dwordx2 s[12:13], s[0:1], 0x38
	v_cmp_lt_u16_e64 s[0:1], 29, v66
                                        ; implicit-def: $vgpr52
                                        ; implicit-def: $vgpr0
                                        ; implicit-def: $vgpr54
                                        ; implicit-def: $vgpr4
	s_and_saveexec_b64 s[2:3], vcc
	s_cbranch_execz .LBB0_3
; %bb.2:
	ds_read_b64 v[52:53], v75 offset:4560
	ds_read_b64 v[54:55], v75 offset:6960
	;; [unrolled: 1-line block ×3, first 2 shown]
	s_waitcnt lgkmcnt(0)
	v_mov_b32_e32 v0, v53
	v_mov_b32_e32 v4, v55
.LBB0_3:
	s_or_b64 exec, exec, s[2:3]
	s_mov_b64 s[2:3], 0x5a
	v_lshl_add_u64 v[20:21], v[66:67], 0, -10
	v_lshl_add_u64 v[110:111], v[66:67], 0, s[2:3]
	v_cmp_gt_u16_e64 s[2:3], 10, v66
	v_lshl_add_u64 v[106:107], v[66:67], 4, s[10:11]
	global_load_dwordx4 v[16:19], v[106:107], off offset:720
	v_cndmask_b32_e64 v57, v21, v111, s[2:3]
	v_cndmask_b32_e64 v56, v20, v110, s[2:3]
	s_mov_b64 s[2:3], 0xb4
	s_mov_b64 s[14:15], 0x10e
	v_lshl_add_u64 v[112:113], v[66:67], 0, s[2:3]
	v_lshl_add_u64 v[114:115], v[66:67], 0, s[14:15]
	v_lshrrev_b16_e32 v3, 2, v112
	v_lshl_add_u64 v[20:21], v[56:57], 4, s[10:11]
	global_load_dwordx4 v[20:23], v[20:21], off offset:720
	v_lshrrev_b16_e32 v7, 2, v114
	v_mul_u32_u24_e32 v3, 0x147b, v3
	v_mul_u32_u24_e32 v7, 0x147b, v7
	v_lshrrev_b32_e32 v3, 17, v3
	v_lshrrev_b32_e32 v7, 17, v7
	v_mul_lo_u16_e32 v8, 0x64, v3
	v_mul_lo_u16_e32 v7, 0x64, v7
	v_sub_u16_e32 v11, v112, v8
	v_mov_b32_e32 v25, 0
	v_sub_u16_e32 v7, v114, v7
	v_lshlrev_b16_e32 v24, 4, v11
	v_lshl_add_u64 v[58:59], s[10:11], 0, v[24:25]
	v_lshlrev_b16_e32 v24, 4, v7
	v_lshl_add_u64 v[60:61], s[10:11], 0, v[24:25]
	global_load_dwordx4 v[24:27], v[60:61], off offset:720
	global_load_dwordx4 v[28:31], v[58:59], off offset:720
	v_mov_b32_e32 v8, 0x12c
	v_cmp_lt_u16_e64 s[2:3], 9, v66
	s_mov_b32 s14, 0x3f5db3d7
	s_movk_i32 s15, 0x12c
	v_cndmask_b32_e64 v8, 0, v8, s[2:3]
	v_add_u32_e32 v8, v56, v8
	v_lshl_add_u32 v124, v8, 3, v125
	s_waitcnt lgkmcnt(0)
	s_barrier
	v_lshl_add_u32 v127, v7, 3, v125
	s_waitcnt vmcnt(3)
	v_pk_mul_f32 v[56:57], v[34:35], v[16:17] op_sel:[0,1]
	v_mov_b32_e32 v8, v19
	v_pk_fma_f32 v[58:59], v[34:35], v[16:17], v[56:57] op_sel:[0,0,1] op_sel_hi:[1,1,0] neg_lo:[0,0,1] neg_hi:[0,0,1]
	v_pk_fma_f32 v[34:35], v[34:35], v[16:17], v[56:57] op_sel:[0,0,1] op_sel_hi:[1,0,0]
	v_pk_mul_f32 v[56:57], v[44:45], v[8:9] op_sel_hi:[1,0]
	v_mov_b32_e32 v59, v35
	v_pk_fma_f32 v[34:35], v[44:45], v[18:19], v[56:57] op_sel:[0,0,1] op_sel_hi:[1,1,0] neg_lo:[0,0,1] neg_hi:[0,0,1]
	v_pk_fma_f32 v[44:45], v[44:45], v[18:19], v[56:57] op_sel:[0,0,1] op_sel_hi:[1,0,0]
	s_waitcnt vmcnt(2)
	v_pk_mul_f32 v[56:57], v[36:37], v[20:21] op_sel:[0,1]
	v_mov_b32_e32 v35, v45
	v_pk_add_f32 v[44:45], v[40:41], v[58:59]
	v_mov_b32_e32 v8, v23
	v_pk_add_f32 v[60:61], v[58:59], v[34:35]
	v_pk_add_f32 v[58:59], v[58:59], v[34:35] neg_lo:[0,1] neg_hi:[0,1]
	v_pk_add_f32 v[34:35], v[44:45], v[34:35]
	v_pk_fma_f32 v[44:45], v[36:37], v[20:21], v[56:57] op_sel:[0,0,1] op_sel_hi:[1,1,0] neg_lo:[0,0,1] neg_hi:[0,0,1]
	v_pk_fma_f32 v[36:37], v[36:37], v[20:21], v[56:57] op_sel:[0,0,1] op_sel_hi:[1,0,0]
	v_pk_mul_f32 v[56:57], v[46:47], v[8:9] op_sel_hi:[1,0]
	v_pk_fma_f32 v[40:41], v[60:61], 0.5, v[40:41] op_sel_hi:[1,0,1] neg_lo:[1,0,0] neg_hi:[1,0,0]
	v_pk_mul_f32 v[58:59], v[58:59], s[14:15] op_sel_hi:[1,0]
	v_mov_b32_e32 v45, v37
	v_pk_fma_f32 v[36:37], v[46:47], v[22:23], v[56:57] op_sel:[0,0,1] op_sel_hi:[1,1,0] neg_lo:[0,0,1] neg_hi:[0,0,1]
	v_pk_fma_f32 v[46:47], v[46:47], v[22:23], v[56:57] op_sel:[0,0,1] op_sel_hi:[1,0,0]
	v_pk_add_f32 v[56:57], v[40:41], v[58:59] op_sel:[0,1] op_sel_hi:[1,0] neg_lo:[0,1] neg_hi:[0,1]
	v_pk_add_f32 v[40:41], v[40:41], v[58:59] op_sel:[0,1] op_sel_hi:[1,0]
	v_mov_b32_e32 v37, v47
	v_pk_add_f32 v[46:47], v[42:43], v[44:45]
	v_mov_b32_e32 v58, v40
	v_mov_b32_e32 v59, v57
	;; [unrolled: 1-line block ×3, first 2 shown]
	v_pk_add_f32 v[40:41], v[46:47], v[36:37]
	v_pk_add_f32 v[46:47], v[44:45], v[36:37]
	v_pk_add_f32 v[36:37], v[44:45], v[36:37] neg_lo:[0,1] neg_hi:[0,1]
	ds_write2_b64 v75, v[34:35], v[58:59] offset1:100
	ds_write_b64 v75, v[56:57] offset:1600
	v_pk_fma_f32 v[34:35], v[46:47], 0.5, v[42:43] op_sel_hi:[1,0,1] neg_lo:[1,0,0] neg_hi:[1,0,0]
	s_waitcnt vmcnt(1)
	v_pk_mul_f32 v[42:43], v[0:1], v[24:25] op_sel_hi:[0,1]
	v_pk_mul_f32 v[44:45], v[4:5], v[26:27] op_sel_hi:[0,1]
	v_pk_fma_f32 v[46:47], v[52:53], v[24:25], v[42:43] op_sel:[0,0,1] op_sel_hi:[1,1,0] neg_lo:[0,0,1] neg_hi:[0,0,1]
	v_pk_fma_f32 v[42:43], v[52:53], v[24:25], v[42:43] op_sel:[0,0,1] op_sel_hi:[0,1,0]
	v_pk_fma_f32 v[52:53], v[54:55], v[26:27], v[44:45] op_sel:[0,0,1] op_sel_hi:[1,1,0] neg_lo:[0,0,1] neg_hi:[0,0,1]
	v_pk_fma_f32 v[44:45], v[54:55], v[26:27], v[44:45] op_sel:[0,0,1] op_sel_hi:[0,1,0]
	v_mov_b32_e32 v47, v43
	v_mov_b32_e32 v53, v45
	v_pk_add_f32 v[42:43], v[50:51], v[46:47]
	v_pk_add_f32 v[44:45], v[46:47], v[52:53]
	v_pk_add_f32 v[46:47], v[46:47], v[52:53] neg_lo:[0,1] neg_hi:[0,1]
	v_pk_add_f32 v[108:109], v[42:43], v[52:53]
	v_pk_fma_f32 v[42:43], v[44:45], 0.5, v[50:51] op_sel_hi:[1,0,1] neg_lo:[1,0,0] neg_hi:[1,0,0]
	v_pk_mul_f32 v[44:45], v[46:47], s[14:15] op_sel_hi:[1,0]
	v_pk_mul_f32 v[36:37], v[36:37], s[14:15] op_sel_hi:[1,0]
	v_pk_add_f32 v[116:117], v[42:43], v[44:45] op_sel:[0,1] op_sel_hi:[1,0] neg_lo:[0,1] neg_hi:[0,1]
	v_pk_add_f32 v[118:119], v[44:45], v[42:43] op_sel:[1,0] op_sel_hi:[0,1]
	v_pk_add_f32 v[42:43], v[34:35], v[36:37] op_sel:[0,1] op_sel_hi:[1,0]
	v_pk_add_f32 v[34:35], v[34:35], v[36:37] op_sel:[0,1] op_sel_hi:[1,0] neg_lo:[0,1] neg_hi:[0,1]
	v_mov_b32_e32 v36, v42
	v_mov_b32_e32 v37, v35
	;; [unrolled: 1-line block ×3, first 2 shown]
	ds_write_b64 v124, v[34:35] offset:1600
	v_mad_legacy_u16 v0, v3, s15, v11
	s_waitcnt vmcnt(0)
	v_pk_mul_f32 v[34:35], v[38:39], v[28:29] op_sel:[0,1]
	ds_write2_b64 v124, v[40:41], v[36:37] offset1:100
	v_lshl_add_u32 v126, v0, 3, v125
	v_pk_fma_f32 v[36:37], v[38:39], v[28:29], v[34:35] op_sel:[0,0,1] op_sel_hi:[1,1,0] neg_lo:[0,0,1] neg_hi:[0,0,1]
	v_pk_fma_f32 v[34:35], v[38:39], v[28:29], v[34:35] op_sel:[0,0,1] op_sel_hi:[1,0,0]
	v_mov_b32_e32 v0, v31
	v_mov_b32_e32 v37, v35
	v_pk_mul_f32 v[34:35], v[48:49], v[0:1] op_sel_hi:[1,0]
	s_nop 0
	v_pk_fma_f32 v[38:39], v[48:49], v[30:31], v[34:35] op_sel:[0,0,1] op_sel_hi:[1,1,0] neg_lo:[0,0,1] neg_hi:[0,0,1]
	v_pk_fma_f32 v[34:35], v[48:49], v[30:31], v[34:35] op_sel:[0,0,1] op_sel_hi:[1,0,0]
	s_nop 0
	v_mov_b32_e32 v39, v35
	v_pk_add_f32 v[34:35], v[36:37], v[38:39]
	v_pk_add_f32 v[40:41], v[36:37], v[38:39] neg_lo:[0,1] neg_hi:[0,1]
	v_pk_fma_f32 v[34:35], v[34:35], 0.5, v[32:33] op_sel_hi:[1,0,1] neg_lo:[1,0,0] neg_hi:[1,0,0]
	v_pk_mul_f32 v[40:41], v[40:41], s[14:15] op_sel_hi:[1,0]
	v_pk_add_f32 v[32:33], v[32:33], v[36:37]
	v_pk_add_f32 v[42:43], v[34:35], v[40:41] op_sel:[0,1] op_sel_hi:[1,0] neg_lo:[0,1] neg_hi:[0,1]
	v_pk_add_f32 v[34:35], v[34:35], v[40:41] op_sel:[0,1] op_sel_hi:[1,0]
	v_pk_add_f32 v[32:33], v[32:33], v[38:39]
	v_mov_b32_e32 v36, v34
	v_mov_b32_e32 v37, v43
	;; [unrolled: 1-line block ×3, first 2 shown]
	ds_write2_b64 v126, v[32:33], v[36:37] offset1:100
	ds_write_b64 v126, v[42:43] offset:1600
	s_and_saveexec_b64 s[2:3], vcc
	s_cbranch_execz .LBB0_5
; %bb.4:
	v_mov_b32_e32 v32, v118
	v_mov_b32_e32 v33, v117
	v_add_u32_e32 v0, 0x1000, v127
	ds_write2_b64 v0, v[108:109], v[32:33] offset0:88 offset1:188
	v_mov_b32_e32 v32, v116
	v_mov_b32_e32 v33, v119
	ds_write_b64 v127, v[32:33] offset:6400
.LBB0_5:
	s_or_b64 exec, exec, s[2:3]
	v_add_u32_e32 v0, 0x400, v75
	s_waitcnt lgkmcnt(0)
	s_barrier
	ds_read2_b64 v[48:51], v0 offset0:52 offset1:172
	v_add_u32_e32 v0, 0x1000, v75
	ds_read2_b64 v[60:63], v0 offset0:88 offset1:178
	v_add_u32_e32 v0, 0x800, v75
	ds_read2_b64 v[56:59], v75 offset1:90
	ds_read2_b64 v[52:55], v0 offset0:134 offset1:224
	ds_read_b64 v[120:121], v75 offset:6240
	s_and_saveexec_b64 s[2:3], s[0:1]
	s_xor_b64 s[2:3], exec, s[2:3]
	s_andn2_saveexec_b64 s[2:3], s[2:3]
	s_cbranch_execz .LBB0_7
; %bb.6:
	ds_read_b64 v[32:33], v75 offset:4560
	ds_read_b64 v[116:117], v75 offset:6960
	;; [unrolled: 1-line block ×3, first 2 shown]
	s_waitcnt lgkmcnt(2)
	v_mov_b32_e32 v118, v32
	s_waitcnt lgkmcnt(1)
	v_mov_b32_e32 v119, v117
	v_mov_b32_e32 v117, v33
.LBB0_7:
	s_or_b64 exec, exec, s[2:3]
	global_load_dwordx4 v[36:39], v[106:107], off offset:2320
	s_movk_i32 s2, 0xffe2
	v_lshl_add_u64 v[32:33], v[110:111], 4, s[10:11]
	s_mov_b32 s3, -1
	v_lshl_add_u64 v[44:45], v[112:113], 4, s[10:11]
	global_load_dwordx4 v[40:43], v[32:33], off offset:2320
	v_mov_b32_e32 v105, v104
	global_load_dwordx4 v[44:47], v[44:45], off offset:2320
	v_lshl_add_u64 v[32:33], v[66:67], 0, s[2:3]
	v_cndmask_b32_e32 v33, v33, v115, vcc
	v_cndmask_b32_e32 v32, v32, v114, vcc
	v_lshl_add_u64 v[32:33], v[32:33], 4, s[10:11]
	global_load_dwordx4 v[32:35], v[32:33], off offset:2320
	s_mov_b32 s2, 0x3f5db3d7
	v_lshl_add_u32 v67, v66, 3, v125
	v_mov_b32_e32 v4, v5
	v_mov_b32_e32 v7, v6
	;; [unrolled: 1-line block ×18, first 2 shown]
	s_waitcnt vmcnt(3) lgkmcnt(4)
	v_pk_mul_f32 v[110:111], v[50:51], v[36:37] op_sel:[0,1]
	v_mov_b32_e32 v112, v39
	v_pk_fma_f32 v[114:115], v[50:51], v[36:37], v[110:111] op_sel:[0,0,1] op_sel_hi:[1,1,0] neg_lo:[0,0,1] neg_hi:[0,0,1]
	v_pk_fma_f32 v[50:51], v[50:51], v[36:37], v[110:111] op_sel:[0,0,1] op_sel_hi:[1,0,0]
	s_waitcnt lgkmcnt(3)
	v_pk_mul_f32 v[110:111], v[60:61], v[112:113] op_sel_hi:[1,0]
	s_waitcnt vmcnt(2) lgkmcnt(1)
	v_pk_mul_f32 v[112:113], v[52:53], v[40:41] op_sel:[0,1]
	v_mov_b32_e32 v50, v43
	v_mov_b32_e32 v115, v51
	v_pk_fma_f32 v[128:129], v[60:61], v[38:39], v[110:111] op_sel:[0,0,1] op_sel_hi:[1,1,0] neg_lo:[0,0,1] neg_hi:[0,0,1]
	v_pk_fma_f32 v[60:61], v[60:61], v[38:39], v[110:111] op_sel:[0,0,1] op_sel_hi:[1,0,0]
	v_pk_fma_f32 v[110:111], v[52:53], v[40:41], v[112:113] op_sel:[0,0,1] op_sel_hi:[1,1,0] neg_lo:[0,0,1] neg_hi:[0,0,1]
	v_pk_fma_f32 v[52:53], v[52:53], v[40:41], v[112:113] op_sel:[0,0,1] op_sel_hi:[1,0,0]
	v_pk_mul_f32 v[50:51], v[62:63], v[50:51] op_sel_hi:[1,0]
	v_mov_b32_e32 v129, v61
	v_pk_add_f32 v[60:61], v[56:57], v[114:115]
	v_mov_b32_e32 v111, v53
	v_pk_fma_f32 v[52:53], v[62:63], v[42:43], v[50:51] op_sel:[0,0,1] op_sel_hi:[1,1,0] neg_lo:[0,0,1] neg_hi:[0,0,1]
	v_pk_fma_f32 v[50:51], v[62:63], v[42:43], v[50:51] op_sel:[0,0,1] op_sel_hi:[1,0,0]
	s_waitcnt vmcnt(0)
	v_pk_mul_f32 v[62:63], v[118:119], v[32:33] op_sel_hi:[0,1]
	v_pk_mul_f32 v[112:113], v[116:117], v[34:35] op_sel_hi:[0,1]
	v_pk_add_f32 v[130:131], v[60:61], v[128:129]
	v_pk_add_f32 v[60:61], v[114:115], v[128:129]
	v_pk_add_f32 v[114:115], v[114:115], v[128:129] neg_lo:[0,1] neg_hi:[0,1]
	v_mov_b32_e32 v53, v51
	v_pk_add_f32 v[50:51], v[58:59], v[110:111]
	v_pk_fma_f32 v[128:129], v[116:117], v[32:33], v[62:63] op_sel:[1,0,1] op_sel_hi:[1,1,0]
	v_pk_fma_f32 v[62:63], v[116:117], v[32:33], v[62:63] op_sel:[1,0,1] op_sel_hi:[1,1,0] neg_lo:[1,0,0] neg_hi:[1,0,0]
	v_pk_fma_f32 v[116:117], v[118:119], v[34:35], v[112:113] op_sel:[1,0,1] op_sel_hi:[1,1,0]
	v_pk_fma_f32 v[112:113], v[118:119], v[34:35], v[112:113] op_sel:[1,0,1] op_sel_hi:[1,1,0] neg_lo:[1,0,0] neg_hi:[1,0,0]
	v_pk_fma_f32 v[118:119], v[60:61], 0.5, v[56:57] op_sel_hi:[1,0,1] neg_lo:[1,0,0] neg_hi:[1,0,0]
	v_pk_mul_f32 v[114:115], v[114:115], s[2:3] op_sel_hi:[1,0]
	v_pk_add_f32 v[50:51], v[50:51], v[52:53]
	v_pk_add_f32 v[132:133], v[110:111], v[52:53]
	v_pk_add_f32 v[52:53], v[110:111], v[52:53] neg_lo:[0,1] neg_hi:[0,1]
	v_mov_b32_e32 v129, v63
	v_mov_b32_e32 v117, v113
	;; [unrolled: 1-line block ×3, first 2 shown]
	v_pk_add_f32 v[62:63], v[118:119], v[114:115] op_sel:[0,1] op_sel_hi:[1,0]
	v_pk_add_f32 v[110:111], v[118:119], v[114:115] op_sel:[0,1] op_sel_hi:[1,0] neg_lo:[0,1] neg_hi:[0,1]
	v_pk_fma_f32 v[58:59], v[132:133], 0.5, v[58:59] op_sel_hi:[1,0,1] neg_lo:[1,0,0] neg_hi:[1,0,0]
	v_pk_mul_f32 v[52:53], v[52:53], s[2:3] op_sel_hi:[1,0]
	v_mov_b32_e32 v61, v116
	v_pk_add_f32 v[114:115], v[128:129], v[116:117] neg_lo:[0,1] neg_hi:[0,1]
	v_mov_b32_e32 v116, v62
	v_mov_b32_e32 v117, v111
	;; [unrolled: 1-line block ×3, first 2 shown]
	v_pk_add_f32 v[62:63], v[58:59], v[52:53] op_sel:[0,1] op_sel_hi:[1,0]
	v_pk_add_f32 v[58:59], v[58:59], v[52:53] op_sel:[0,1] op_sel_hi:[1,0] neg_lo:[0,1] neg_hi:[0,1]
	ds_write_b64 v67, v[116:117] offset:2400
	ds_write_b64 v67, v[110:111] offset:4800
	ds_write2_b64 v75, v[130:131], v[50:51] offset1:90
	v_mov_b32_e32 v111, v59
	v_mov_b32_e32 v59, v63
	ds_write_b64 v67, v[58:59] offset:5520
	v_pk_mul_f32 v[58:59], v[54:55], v[44:45] op_sel:[0,1]
	v_mov_b32_e32 v110, v62
	v_pk_fma_f32 v[62:63], v[54:55], v[44:45], v[58:59] op_sel:[0,0,1] op_sel_hi:[1,1,0] neg_lo:[0,0,1] neg_hi:[0,0,1]
	v_pk_fma_f32 v[54:55], v[54:55], v[44:45], v[58:59] op_sel:[0,0,1] op_sel_hi:[1,0,0]
	ds_write_b64 v67, v[110:111] offset:3120
	v_mov_b32_e32 v54, v47
	v_mov_b32_e32 v63, v55
	s_waitcnt lgkmcnt(5)
	v_pk_mul_f32 v[54:55], v[120:121], v[54:55] op_sel_hi:[1,0]
	v_mov_b32_e32 v57, v128
	v_pk_fma_f32 v[58:59], v[120:121], v[46:47], v[54:55] op_sel:[0,0,1] op_sel_hi:[1,1,0] neg_lo:[0,0,1] neg_hi:[0,0,1]
	v_pk_fma_f32 v[54:55], v[120:121], v[46:47], v[54:55] op_sel:[0,0,1] op_sel_hi:[1,0,0]
	v_mov_b32_e32 v60, v113
	v_mov_b32_e32 v59, v55
	v_pk_add_f32 v[54:55], v[48:49], v[62:63]
	v_pk_add_f32 v[112:113], v[56:57], v[60:61]
	;; [unrolled: 1-line block ×3, first 2 shown]
	ds_write_b64 v75, v[54:55] offset:1440
	v_pk_add_f32 v[54:55], v[62:63], v[58:59]
	v_pk_fma_f32 v[52:53], v[112:113], 0.5, v[108:109] op_sel_hi:[1,0,1] neg_lo:[1,0,0] neg_hi:[1,0,0]
	v_pk_fma_f32 v[48:49], v[54:55], 0.5, v[48:49] op_sel_hi:[1,0,1] neg_lo:[1,0,0] neg_hi:[1,0,0]
	v_pk_add_f32 v[54:55], v[62:63], v[58:59] neg_lo:[0,1] neg_hi:[0,1]
	v_pk_fma_f32 v[50:51], v[114:115], s[2:3], v[52:53] op_sel_hi:[1,0,1] neg_lo:[1,0,0] neg_hi:[1,0,0]
	v_pk_mul_f32 v[54:55], v[54:55], s[2:3] op_sel_hi:[1,0]
	v_pk_fma_f32 v[52:53], v[114:115], s[2:3], v[52:53] op_sel_hi:[1,0,1]
	v_pk_add_f32 v[58:59], v[48:49], v[54:55] op_sel:[0,1] op_sel_hi:[1,0]
	v_pk_add_f32 v[48:49], v[48:49], v[54:55] op_sel:[0,1] op_sel_hi:[1,0] neg_lo:[0,1] neg_hi:[0,1]
	v_mov_b32_e32 v54, v58
	v_mov_b32_e32 v55, v49
	;; [unrolled: 1-line block ×3, first 2 shown]
	ds_write_b64 v75, v[54:55] offset:3840
	ds_write_b64 v75, v[48:49] offset:6240
	s_and_saveexec_b64 s[2:3], vcc
	s_cbranch_execz .LBB0_9
; %bb.8:
	v_pk_add_f32 v[48:49], v[108:109], v[56:57]
	s_nop 0
	v_pk_add_f32 v[48:49], v[48:49], v[60:61]
	ds_write_b64 v75, v[48:49] offset:2160
	v_mov_b32_e32 v48, v52
	v_mov_b32_e32 v49, v51
	ds_write_b64 v67, v[48:49] offset:4560
	v_mov_b32_e32 v48, v50
	v_mov_b32_e32 v49, v53
	ds_write_b64 v67, v[48:49] offset:6960
.LBB0_9:
	s_or_b64 exec, exec, s[2:3]
	v_lshlrev_b32_e32 v48, 3, v66
	v_mov_b32_e32 v49, 0
	v_lshl_add_u64 v[48:49], s[8:9], 0, v[48:49]
	s_mov_b64 s[2:3], 0x1c20
	v_lshl_add_u64 v[54:55], v[48:49], 0, s[2:3]
	s_movk_i32 s2, 0x1000
	v_add_co_u32_e64 v56, s[2:3], s2, v48
	s_waitcnt lgkmcnt(0)
	s_nop 0
	v_addc_co_u32_e64 v57, s[2:3], 0, v49, s[2:3]
	s_movk_i32 s2, 0x2000
	s_barrier
	global_load_dwordx2 v[62:63], v[56:57], off offset:3104
	global_load_dwordx2 v[120:121], v[54:55], off offset:720
	;; [unrolled: 1-line block ×5, first 2 shown]
	v_add_co_u32_e64 v56, s[2:3], s2, v48
	v_add_u32_e32 v125, 0x400, v75
	s_nop 0
	v_addc_co_u32_e64 v57, s[2:3], 0, v49, s[2:3]
	s_movk_i32 s2, 0x3000
	s_nop 0
	v_add_co_u32_e64 v48, s[2:3], s2, v48
	global_load_dwordx2 v[134:135], v[56:57], off offset:3328
	global_load_dwordx2 v[136:137], v[56:57], off offset:4048
	;; [unrolled: 1-line block ×3, first 2 shown]
	v_addc_co_u32_e64 v49, s[2:3], 0, v49, s[2:3]
	global_load_dwordx2 v[140:141], v[48:49], off offset:672
	global_load_dwordx2 v[142:143], v[48:49], off offset:1392
	ds_read2_b64 v[54:57], v75 offset1:90
	v_add_u32_e32 v154, 0x800, v75
	v_add_u32_e32 v155, 0x1000, v75
	;; [unrolled: 1-line block ×3, first 2 shown]
	ds_read2_b64 v[58:61], v125 offset0:52 offset1:142
	ds_read2_b64 v[108:111], v154 offset0:104 offset1:194
	;; [unrolled: 1-line block ×4, first 2 shown]
	s_mov_b32 s2, 0x3f737871
	s_mov_b32 s10, 0x3f167918
	;; [unrolled: 1-line block ×10, first 2 shown]
	s_waitcnt vmcnt(9) lgkmcnt(4)
	v_mul_f32_e32 v48, v55, v63
	v_mul_f32_e32 v49, v54, v63
	s_waitcnt vmcnt(8)
	v_mul_f32_e32 v144, v57, v121
	v_mul_f32_e32 v63, v56, v121
	s_waitcnt vmcnt(7) lgkmcnt(3)
	v_mul_f32_e32 v145, v59, v129
	v_mul_f32_e32 v121, v58, v129
	s_waitcnt vmcnt(6)
	v_mul_f32_e32 v146, v61, v131
	v_mul_f32_e32 v129, v60, v131
	s_waitcnt vmcnt(5) lgkmcnt(2)
	v_mul_f32_e32 v147, v109, v133
	v_mul_f32_e32 v131, v108, v133
	v_fma_f32 v48, v54, v62, -v48
	s_waitcnt vmcnt(4) lgkmcnt(1)
	v_mul_f32_e32 v149, v113, v135
	s_waitcnt vmcnt(3)
	v_mul_f32_e32 v150, v115, v137
	s_waitcnt vmcnt(2)
	v_mul_f32_e32 v148, v111, v139
	v_mul_f32_e32 v133, v110, v139
	;; [unrolled: 1-line block ×4, first 2 shown]
	s_waitcnt vmcnt(1) lgkmcnt(0)
	v_mul_f32_e32 v151, v117, v141
	v_mul_f32_e32 v137, v116, v141
	s_waitcnt vmcnt(0)
	v_mul_f32_e32 v152, v119, v143
	v_mul_f32_e32 v141, v118, v143
	v_fmac_f32_e32 v49, v55, v62
	v_fma_f32 v62, v56, v120, -v144
	v_fmac_f32_e32 v63, v57, v120
	v_fma_f32 v120, v58, v128, -v145
	v_fmac_f32_e32 v121, v59, v128
	v_fma_f32 v128, v60, v130, -v146
	v_fmac_f32_e32 v129, v61, v130
	v_fma_f32 v130, v108, v132, -v147
	v_fmac_f32_e32 v131, v109, v132
	v_fma_f32 v132, v110, v138, -v148
	v_fmac_f32_e32 v133, v111, v138
	v_fma_f32 v138, v112, v134, -v149
	v_fmac_f32_e32 v139, v113, v134
	v_fma_f32 v134, v114, v136, -v150
	v_fmac_f32_e32 v135, v115, v136
	v_fma_f32 v136, v116, v140, -v151
	v_fmac_f32_e32 v137, v117, v140
	v_fma_f32 v140, v118, v142, -v152
	v_fmac_f32_e32 v141, v119, v142
	ds_write2_b64 v75, v[48:49], v[62:63] offset1:90
	ds_write2_b64 v125, v[120:121], v[128:129] offset0:52 offset1:142
	ds_write2_b64 v154, v[130:131], v[132:133] offset0:104 offset1:194
	ds_write2_b64 v155, v[138:139], v[134:135] offset0:28 offset1:118
	ds_write2_b64 v156, v[136:137], v[140:141] offset0:80 offset1:170
	s_waitcnt lgkmcnt(0)
	s_barrier
	ds_read2_b64 v[54:57], v75 offset1:90
	ds_read2_b64 v[58:61], v125 offset0:52 offset1:142
	ds_read2_b64 v[108:111], v154 offset0:104 offset1:194
	;; [unrolled: 1-line block ×4, first 2 shown]
	s_waitcnt lgkmcnt(0)
	v_mov_b32_e32 v128, v60
	v_pk_add_f32 v[142:143], v[58:59], v[108:109] neg_lo:[0,1] neg_hi:[0,1]
	v_pk_add_f32 v[130:131], v[108:109], v[112:113]
	v_pk_add_f32 v[134:135], v[58:59], v[116:117] neg_lo:[0,1] neg_hi:[0,1]
	v_pk_fma_f32 v[130:131], v[130:131], 0.5, v[54:55] op_sel_hi:[1,0,1] neg_lo:[1,0,0] neg_hi:[1,0,0]
	v_pk_mul_f32 v[136:137], v[134:135], s[2:3] op_sel_hi:[1,0]
	v_pk_add_f32 v[138:139], v[108:109], v[112:113] neg_lo:[0,1] neg_hi:[0,1]
	v_pk_add_f32 v[144:145], v[116:117], v[112:113] neg_lo:[0,1] neg_hi:[0,1]
	v_pk_mul_f32 v[140:141], v[138:139], s[10:11] op_sel_hi:[1,0]
	v_pk_add_f32 v[142:143], v[142:143], v[144:145]
	v_pk_add_f32 v[144:145], v[130:131], v[136:137] op_sel:[0,1] op_sel_hi:[1,0] neg_lo:[0,1] neg_hi:[0,1]
	v_pk_add_f32 v[130:131], v[130:131], v[136:137] op_sel:[0,1] op_sel_hi:[1,0]
	v_mov_b32_e32 v120, v110
	v_mov_b32_e32 v121, v114
	;; [unrolled: 1-line block ×3, first 2 shown]
	v_pk_add_f32 v[136:137], v[130:131], v[140:141] op_sel:[0,1] op_sel_hi:[1,0]
	v_pk_add_f32 v[140:141], v[144:145], v[140:141] op_sel:[0,1] op_sel_hi:[1,0] neg_lo:[0,1] neg_hi:[0,1]
	v_pk_add_f32 v[120:121], v[120:121], v[128:129] neg_lo:[0,1] neg_hi:[0,1]
	v_pk_add_f32 v[128:129], v[56:57], v[60:61]
	v_mov_b32_e32 v130, v140
	v_mov_b32_e32 v131, v137
	v_pk_add_f32 v[62:63], v[60:61], v[118:119]
	v_pk_add_f32 v[128:129], v[128:129], v[110:111]
	v_pk_fma_f32 v[144:145], v[142:143], s[8:9], v[130:131] op_sel_hi:[1,0,1]
	v_pk_add_f32 v[130:131], v[110:111], v[114:115]
	v_fma_f32 v157, -0.5, v62, v56
	v_mov_b32_e32 v62, v121
	v_pk_add_f32 v[128:129], v[128:129], v[114:115]
	v_fma_f32 v158, -0.5, v63, v57
	v_pk_fma_f32 v[56:57], v[130:131], 0.5, v[56:57] op_sel_hi:[1,0,1] neg_lo:[1,0,0] neg_hi:[1,0,0]
	v_pk_add_f32 v[130:131], v[60:61], v[118:119] neg_lo:[0,1] neg_hi:[0,1]
	v_pk_add_f32 v[120:121], v[120:121], v[62:63]
	v_pk_add_f32 v[132:133], v[128:129], v[118:119]
	v_mov_b32_e32 v62, v111
	v_mov_b32_e32 v63, v115
	;; [unrolled: 1-line block ×4, first 2 shown]
	v_pk_mul_f32 v[146:147], v[130:131], s[2:3] op_sel_hi:[1,0]
	v_pk_add_f32 v[150:151], v[110:111], v[114:115] neg_lo:[0,1] neg_hi:[0,1]
	v_pk_add_f32 v[62:63], v[62:63], v[128:129] neg_lo:[0,1] neg_hi:[0,1]
	v_pk_add_f32 v[148:149], v[56:57], v[146:147] op_sel:[0,1] op_sel_hi:[1,0]
	v_pk_mul_f32 v[152:153], v[150:151], s[10:11] op_sel_hi:[1,0]
	v_pk_add_f32 v[60:61], v[60:61], v[110:111] neg_lo:[0,1] neg_hi:[0,1]
	v_pk_add_f32 v[110:111], v[118:119], v[114:115] neg_lo:[0,1] neg_hi:[0,1]
	v_mov_b32_e32 v128, v63
	v_pk_add_f32 v[148:149], v[152:153], v[148:149] op_sel:[1,0] op_sel_hi:[0,1]
	v_pk_add_f32 v[60:61], v[60:61], v[110:111]
	v_pk_add_f32 v[62:63], v[62:63], v[128:129]
	v_pk_fma_f32 v[110:111], v[60:61], s[8:9], v[148:149] op_sel_hi:[1,0,1]
	v_mov_b32_e32 v121, v131
	s_mov_b32 s9, s10
	v_pk_add_f32 v[56:57], v[56:57], v[146:147] op_sel:[0,1] op_sel_hi:[1,0] neg_lo:[0,1] neg_hi:[0,1]
	v_fmamk_f32 v63, v151, 0x3f737871, v157
	v_pk_mul_f32 v[114:115], v[120:121], s[8:9]
	v_pk_add_f32 v[56:57], v[56:57], v[152:153] op_sel:[0,1] op_sel_hi:[1,0] neg_lo:[0,1] neg_hi:[0,1]
	v_sub_f32_e32 v63, v63, v115
	v_fmac_f32_e32 v157, 0xbf737871, v151
	v_mov_b32_e32 v148, v56
	v_add_f32_e32 v118, v114, v63
	v_add_f32_e32 v63, v115, v157
	v_pk_fma_f32 v[120:121], v[60:61], s[8:9], v[148:149] op_sel_hi:[1,0,1]
	v_add_f32_e32 v114, v114, v63
	v_mov_b32_e32 v63, v130
	v_pk_mul_f32 v[130:131], v[120:121], s[10:11] op_sel_hi:[1,0]
	v_pk_add_f32 v[48:49], v[54:55], v[58:59]
	v_pk_fma_f32 v[146:147], v[120:121], s[14:15], v[130:131] op_sel:[0,0,1] op_sel_hi:[1,0,0] neg_lo:[0,0,1] neg_hi:[0,0,1]
	v_pk_fma_f32 v[120:121], v[120:121], s[14:15], v[130:131] op_sel:[0,0,1] op_sel_hi:[1,0,0]
	v_pk_add_f32 v[48:49], v[48:49], v[108:109]
	v_mov_b32_e32 v147, v121
	v_pk_add_f32 v[120:121], v[58:59], v[116:117]
	v_pk_add_f32 v[58:59], v[108:109], v[58:59] neg_lo:[0,1] neg_hi:[0,1]
	v_pk_add_f32 v[108:109], v[112:113], v[116:117] neg_lo:[0,1] neg_hi:[0,1]
	v_pk_add_f32 v[48:49], v[48:49], v[112:113]
	v_pk_fma_f32 v[54:55], v[120:121], 0.5, v[54:55] op_sel_hi:[1,0,1] neg_lo:[1,0,0] neg_hi:[1,0,0]
	v_pk_add_f32 v[58:59], v[58:59], v[108:109]
	v_pk_mul_f32 v[108:109], v[138:139], s[2:3] op_sel_hi:[1,0]
	v_pk_add_f32 v[48:49], v[48:49], v[116:117]
	v_pk_fma_f32 v[60:61], v[60:61], s[8:9], v[56:57] op_sel_hi:[1,0,1]
	v_fmamk_f32 v115, v150, 0xbf737871, v158
	v_pk_mul_f32 v[56:57], v[62:63], s[8:9]
	v_pk_mul_f32 v[112:113], v[134:135], s[10:11] op_sel_hi:[1,0]
	v_pk_add_f32 v[116:117], v[54:55], v[108:109] op_sel:[0,1] op_sel_hi:[1,0]
	v_pk_add_f32 v[54:55], v[54:55], v[108:109] op_sel:[0,1] op_sel_hi:[1,0] neg_lo:[0,1] neg_hi:[0,1]
	v_add_f32_e32 v62, v57, v115
	v_fmac_f32_e32 v158, 0x3f737871, v150
	v_pk_add_f32 v[108:109], v[54:55], v[112:113] op_sel:[0,1] op_sel_hi:[1,0]
	v_pk_add_f32 v[112:113], v[116:117], v[112:113] op_sel:[0,1] op_sel_hi:[1,0] neg_lo:[0,1] neg_hi:[0,1]
	v_add_f32_e32 v62, v56, v62
	v_sub_f32_e32 v57, v158, v57
	v_mov_b32_e32 v54, v112
	v_mov_b32_e32 v55, v109
	s_mov_b32 s3, s8
	v_add_f32_e32 v56, v56, v57
	v_pk_fma_f32 v[116:117], v[58:59], s[8:9], v[54:55] op_sel_hi:[1,0,1]
	v_pk_mul_f32 v[54:55], v[62:63], s[2:3] op_sel_hi:[0,1]
	v_pk_fma_f32 v[62:63], v[118:119], s[18:19], v[54:55] neg_lo:[0,0,1] neg_hi:[0,0,1]
	v_pk_fma_f32 v[54:55], v[118:119], s[18:19], v[54:55] op_sel_hi:[0,1,1]
	v_pk_mul_f32 v[56:57], v[56:57], s[2:3] op_sel_hi:[0,1]
	v_mov_b32_e32 v109, v113
	v_mov_b32_e32 v63, v55
	v_pk_fma_f32 v[114:115], v[114:115], s[16:17], v[56:57] op_sel_hi:[0,1,1] neg_lo:[0,0,1] neg_hi:[0,0,1]
	v_pk_fma_f32 v[58:59], v[58:59], s[8:9], v[108:109] op_sel_hi:[1,0,1]
	v_pk_add_f32 v[54:55], v[116:117], v[62:63]
	v_pk_add_f32 v[56:57], v[58:59], v[114:115]
	s_mov_b32 s11, s14
	s_barrier
	ds_write_b128 v122, v[54:57] offset:16
	v_mov_b32_e32 v137, v141
	v_pk_mul_f32 v[54:55], v[60:61], s[10:11] op_sel:[1,0]
	v_pk_fma_f32 v[108:109], v[142:143], s[8:9], v[136:137] op_sel_hi:[1,0,1]
	v_pk_fma_f32 v[60:61], v[110:111], s[20:21], v[54:55] op_sel_hi:[0,1,1] neg_lo:[0,0,1] neg_hi:[0,0,1]
	v_pk_add_f32 v[54:55], v[108:109], v[60:61]
	v_pk_add_f32 v[56:57], v[48:49], v[132:133] neg_lo:[0,1] neg_hi:[0,1]
	ds_write_b128 v122, v[54:57] offset:32
	v_pk_add_f32 v[54:55], v[144:145], v[146:147] neg_lo:[0,1] neg_hi:[0,1]
	v_pk_add_f32 v[56:57], v[116:117], v[62:63] neg_lo:[0,1] neg_hi:[0,1]
	v_pk_add_f32 v[128:129], v[48:49], v[132:133]
	v_pk_add_f32 v[130:131], v[144:145], v[146:147]
	ds_write_b128 v122, v[54:57] offset:48
	v_pk_add_f32 v[54:55], v[58:59], v[114:115] neg_lo:[0,1] neg_hi:[0,1]
	v_pk_add_f32 v[56:57], v[108:109], v[60:61] neg_lo:[0,1] neg_hi:[0,1]
	ds_write_b128 v122, v[128:131]
	ds_write_b128 v122, v[54:57] offset:64
	s_waitcnt lgkmcnt(0)
	s_barrier
	ds_read2_b64 v[54:57], v75 offset1:90
	ds_read2_b64 v[58:61], v125 offset0:52 offset1:142
	ds_read2_b64 v[108:111], v154 offset0:104 offset1:194
	;; [unrolled: 1-line block ×4, first 2 shown]
	s_waitcnt lgkmcnt(4)
	v_pk_mul_f32 v[4:5], v[4:5], v[56:57]
	s_waitcnt lgkmcnt(3)
	v_pk_mul_f32 v[0:1], v[0:1], v[60:61]
	v_pk_fma_f32 v[48:49], v[104:105], v[56:57], v[4:5] op_sel:[0,0,1] op_sel_hi:[1,1,0]
	v_pk_fma_f32 v[4:5], v[104:105], v[56:57], v[4:5] op_sel:[0,0,1] op_sel_hi:[1,1,0] neg_lo:[0,0,1] neg_hi:[0,0,1]
	v_pk_mul_f32 v[56:57], v[102:103], v[58:59]
	s_waitcnt lgkmcnt(1)
	v_pk_mul_f32 v[12:13], v[12:13], v[114:115]
	v_pk_fma_f32 v[62:63], v[6:7], v[58:59], v[56:57] op_sel:[0,0,1] op_sel_hi:[1,1,0]
	v_pk_fma_f32 v[6:7], v[6:7], v[58:59], v[56:57] op_sel:[0,0,1] op_sel_hi:[1,1,0] neg_lo:[0,0,1] neg_hi:[0,0,1]
	v_pk_mul_f32 v[56:57], v[100:101], v[108:109]
	v_mov_b32_e32 v63, v7
	v_pk_fma_f32 v[6:7], v[90:91], v[60:61], v[0:1] op_sel:[0,0,1] op_sel_hi:[1,1,0]
	v_pk_fma_f32 v[0:1], v[90:91], v[60:61], v[0:1] op_sel:[0,0,1] op_sel_hi:[1,1,0] neg_lo:[0,0,1] neg_hi:[0,0,1]
	v_pk_mul_f32 v[60:61], v[96:97], v[112:113]
	v_pk_mul_f32 v[8:9], v[8:9], v[110:111]
	v_pk_fma_f32 v[90:91], v[10:11], v[112:113], v[60:61] op_sel:[0,0,1] op_sel_hi:[1,1,0]
	v_pk_fma_f32 v[10:11], v[10:11], v[112:113], v[60:61] op_sel:[0,0,1] op_sel_hi:[1,1,0] neg_lo:[0,0,1] neg_hi:[0,0,1]
	v_pk_fma_f32 v[60:61], v[92:93], v[114:115], v[12:13] op_sel:[0,0,1] op_sel_hi:[1,1,0]
	v_pk_fma_f32 v[12:13], v[92:93], v[114:115], v[12:13] op_sel:[0,0,1] op_sel_hi:[1,1,0] neg_lo:[0,0,1] neg_hi:[0,0,1]
	s_waitcnt lgkmcnt(0)
	v_pk_mul_f32 v[92:93], v[98:99], v[116:117]
	v_pk_fma_f32 v[58:59], v[2:3], v[108:109], v[56:57] op_sel:[0,0,1] op_sel_hi:[1,1,0]
	v_pk_fma_f32 v[2:3], v[2:3], v[108:109], v[56:57] op_sel:[0,0,1] op_sel_hi:[1,1,0] neg_lo:[0,0,1] neg_hi:[0,0,1]
	v_pk_fma_f32 v[56:57], v[94:95], v[110:111], v[8:9] op_sel:[0,0,1] op_sel_hi:[1,1,0]
	v_pk_fma_f32 v[8:9], v[94:95], v[110:111], v[8:9] op_sel:[0,0,1] op_sel_hi:[1,1,0] neg_lo:[0,0,1] neg_hi:[0,0,1]
	;; [unrolled: 2-line block ×3, first 2 shown]
	v_mov_b32_e32 v104, v6
	v_mov_b32_e32 v95, v15
	v_pk_mul_f32 v[14:15], v[88:89], v[118:119]
	v_mov_b32_e32 v57, v9
	v_pk_fma_f32 v[88:89], v[106:107], v[118:119], v[14:15] op_sel:[0,0,1] op_sel_hi:[1,1,0]
	v_pk_fma_f32 v[14:15], v[106:107], v[118:119], v[14:15] op_sel:[0,0,1] op_sel_hi:[1,1,0] neg_lo:[0,0,1] neg_hi:[0,0,1]
	v_mov_b32_e32 v105, v88
	v_mov_b32_e32 v106, v56
	;; [unrolled: 1-line block ×3, first 2 shown]
	v_pk_add_f32 v[108:109], v[104:105], v[106:107] neg_lo:[0,1] neg_hi:[0,1]
	v_mov_b32_e32 v61, v13
	v_mov_b32_e32 v0, v109
	;; [unrolled: 1-line block ×4, first 2 shown]
	v_pk_add_f32 v[98:99], v[56:57], v[60:61]
	v_pk_add_f32 v[102:103], v[56:57], v[60:61] neg_lo:[0,1] neg_hi:[0,1]
	v_pk_add_f32 v[108:109], v[108:109], v[0:1]
	v_fma_f32 v2, -0.5, v98, v48
	v_pk_add_f32 v[100:101], v[6:7], v[88:89] neg_lo:[0,1] neg_hi:[0,1]
	v_mov_b32_e32 v109, v103
	v_fmamk_f32 v4, v101, 0xbf737871, v2
	v_pk_mul_f32 v[108:109], v[108:109], s[8:9]
	v_fmac_f32_e32 v2, 0x3f737871, v101
	v_pk_add_f32 v[104:105], v[106:107], v[104:105] neg_lo:[0,1] neg_hi:[0,1]
	v_sub_f32_e32 v0, v4, v109
	v_add_f32_e32 v2, v109, v2
	v_mov_b32_e32 v4, v105
	v_add_f32_e32 v0, v108, v0
	v_add_f32_e32 v2, v108, v2
	v_pk_add_f32 v[108:109], v[6:7], v[88:89]
	v_mov_b32_e32 v8, v48
	v_pk_add_f32 v[104:105], v[104:105], v[4:5]
	v_mov_b32_e32 v49, v5
	v_fmac_f32_e32 v8, -0.5, v108
	v_mov_b32_e32 v105, v101
	v_mov_b32_e32 v14, v1
	;; [unrolled: 1-line block ×3, first 2 shown]
	v_fmamk_f32 v10, v103, 0x3f737871, v8
	v_pk_mul_f32 v[104:105], v[104:105], s[8:9]
	v_pk_add_f32 v[6:7], v[48:49], v[6:7]
	v_pk_add_f32 v[48:49], v[14:15], v[12:13] neg_lo:[0,1] neg_hi:[0,1]
	v_sub_f32_e32 v4, v10, v105
	v_mov_b32_e32 v10, v49
	v_pk_add_f32 v[48:49], v[48:49], v[10:11]
	v_pk_add_f32 v[6:7], v[6:7], v[56:57]
	v_fma_f32 v56, -0.5, v99, v5
	v_mov_b32_e32 v49, v102
	v_pk_add_f32 v[12:13], v[12:13], v[14:15] neg_lo:[0,1] neg_hi:[0,1]
	v_fmamk_f32 v57, v100, 0x3f737871, v56
	v_pk_mul_f32 v[48:49], v[48:49], s[8:9]
	v_mov_b32_e32 v14, v13
	v_add_f32_e32 v1, v49, v57
	v_fmac_f32_e32 v56, 0xbf737871, v100
	v_pk_add_f32 v[12:13], v[12:13], v[14:15]
	v_add_f32_e32 v10, v48, v1
	v_sub_f32_e32 v1, v56, v49
	v_fmac_f32_e32 v5, -0.5, v109
	v_mov_b32_e32 v13, v100
	v_mov_b32_e32 v59, v3
	;; [unrolled: 1-line block ×3, first 2 shown]
	v_add_f32_e32 v48, v48, v1
	v_fmamk_f32 v1, v102, 0xbf737871, v5
	v_pk_mul_f32 v[12:13], v[12:13], s[8:9]
	v_pk_add_f32 v[96:97], v[58:59], v[90:91]
	v_add_f32_e32 v1, v13, v1
	v_fmac_f32_e32 v5, 0x3f737871, v102
	v_pk_add_f32 v[6:7], v[6:7], v[60:61]
	v_add_f32_e32 v14, v12, v1
	v_sub_f32_e32 v1, v5, v13
	v_pk_fma_f32 v[60:61], v[96:97], 0.5, v[54:55] op_sel_hi:[1,0,1] neg_lo:[1,0,0] neg_hi:[1,0,0]
	v_mov_b32_e32 v96, v11
	v_pk_mul_f32 v[48:49], v[48:49], s[10:11] op_sel_hi:[0,1]
	s_mov_b32 s15, s10
	v_pk_mul_f32 v[10:11], v[10:11], s[10:11] op_sel_hi:[0,1]
	v_pk_add_f32 v[92:93], v[54:55], v[62:63]
	v_pk_add_f32 v[6:7], v[6:7], v[88:89]
	v_add_f32_e32 v12, v12, v1
	v_mov_b32_e32 v88, v3
	v_mov_b32_e32 v89, v58
	;; [unrolled: 1-line block ×3, first 2 shown]
	v_pk_fma_f32 v[2:3], v[2:3], s[20:21], v[48:49] op_sel_hi:[0,1,1] neg_lo:[0,0,1] neg_hi:[0,0,1]
	v_pk_fma_f32 v[48:49], v[0:1], s[14:15], v[10:11] neg_lo:[0,0,1] neg_hi:[0,0,1]
	v_pk_fma_f32 v[0:1], v[0:1], s[14:15], v[10:11] op_sel_hi:[0,1,1]
	v_pk_add_f32 v[92:93], v[92:93], v[58:59]
	v_add_f32_e32 v4, v104, v4
	v_pk_add_f32 v[88:89], v[88:89], v[96:97] neg_lo:[0,1] neg_hi:[0,1]
	v_pk_add_f32 v[96:97], v[62:63], v[58:59] neg_lo:[0,1] neg_hi:[0,1]
	v_mov_b32_e32 v49, v1
	v_pk_add_f32 v[0:1], v[62:63], v[94:95] neg_lo:[0,1] neg_hi:[0,1]
	v_pk_add_f32 v[10:11], v[62:63], v[94:95]
	v_pk_add_f32 v[58:59], v[58:59], v[62:63] neg_lo:[0,1] neg_hi:[0,1]
	v_pk_add_f32 v[62:63], v[90:91], v[94:95] neg_lo:[0,1] neg_hi:[0,1]
	v_pk_mul_f32 v[14:15], v[14:15], s[2:3] op_sel_hi:[0,1]
	v_pk_fma_f32 v[10:11], v[10:11], 0.5, v[54:55] op_sel_hi:[1,0,1] neg_lo:[1,0,0] neg_hi:[1,0,0]
	v_pk_mul_f32 v[54:55], v[0:1], s[10:11] op_sel_hi:[1,0]
	v_pk_add_f32 v[58:59], v[58:59], v[62:63]
	v_pk_fma_f32 v[62:63], v[4:5], s[18:19], v[14:15] neg_lo:[0,0,1] neg_hi:[0,0,1]
	v_pk_fma_f32 v[4:5], v[4:5], s[18:19], v[14:15] op_sel_hi:[0,1,1]
	v_pk_mul_f32 v[0:1], v[0:1], s[2:3] op_sel_hi:[1,0]
	v_mov_b32_e32 v63, v5
	v_pk_add_f32 v[4:5], v[60:61], v[0:1] op_sel:[0,1] op_sel_hi:[1,0]
	v_pk_add_f32 v[0:1], v[60:61], v[0:1] op_sel:[0,1] op_sel_hi:[1,0] neg_lo:[0,1] neg_hi:[0,1]
	v_pk_add_f32 v[98:99], v[94:95], v[90:91] neg_lo:[0,1] neg_hi:[0,1]
	v_pk_fma_f32 v[0:1], v[88:89], s[10:11], v[0:1] op_sel_hi:[1,0,1] neg_lo:[1,0,0] neg_hi:[1,0,0]
	v_pk_fma_f32 v[4:5], v[88:89], s[10:11], v[4:5] op_sel_hi:[1,0,1]
	v_pk_add_f32 v[92:93], v[92:93], v[90:91]
	v_pk_add_f32 v[96:97], v[96:97], v[98:99]
	v_mov_b32_e32 v15, v1
	v_pk_fma_f32 v[60:61], v[88:89], s[2:3], v[10:11] op_sel_hi:[1,0,1]
	v_pk_fma_f32 v[10:11], v[88:89], s[2:3], v[10:11] op_sel_hi:[1,0,1] neg_lo:[1,0,0] neg_hi:[1,0,0]
	v_mov_b32_e32 v1, v5
	v_pk_add_f32 v[92:93], v[92:93], v[94:95]
	v_fmac_f32_e32 v8, 0xbf737871, v103
	v_mov_b32_e32 v14, v4
	v_pk_add_f32 v[10:11], v[10:11], v[54:55] op_sel:[0,1] op_sel_hi:[1,0]
	v_pk_add_f32 v[60:61], v[60:61], v[54:55] op_sel:[0,1] op_sel_hi:[1,0] neg_lo:[0,1] neg_hi:[0,1]
	v_pk_fma_f32 v[0:1], v[96:97], s[8:9], v[0:1] op_sel_hi:[1,0,1]
	v_add_f32_e32 v8, v105, v8
	v_pk_add_f32 v[56:57], v[92:93], v[6:7]
	v_pk_fma_f32 v[14:15], v[96:97], s[8:9], v[14:15] op_sel_hi:[1,0,1]
	v_mov_b32_e32 v54, v60
	v_mov_b32_e32 v55, v11
	v_pk_add_f32 v[4:5], v[0:1], v[48:49]
	v_add_f32_e32 v8, v104, v8
	s_barrier
	v_pk_fma_f32 v[88:89], v[58:59], s[8:9], v[54:55] op_sel_hi:[1,0,1]
	v_pk_add_f32 v[54:55], v[14:15], v[2:3] neg_lo:[0,1] neg_hi:[0,1]
	ds_write2_b64 v123, v[56:57], v[4:5] offset1:10
	v_pk_mul_f32 v[4:5], v[12:13], s[2:3] op_sel_hi:[0,1]
	v_mov_b32_e32 v11, v61
	v_pk_add_f32 v[2:3], v[14:15], v[2:3]
	v_pk_add_f32 v[6:7], v[92:93], v[6:7] neg_lo:[0,1] neg_hi:[0,1]
	v_pk_fma_f32 v[4:5], v[8:9], s[16:17], v[4:5] op_sel_hi:[0,1,1] neg_lo:[0,0,1] neg_hi:[0,0,1]
	v_pk_fma_f32 v[8:9], v[58:59], s[8:9], v[10:11] op_sel_hi:[1,0,1]
	ds_write2_b64 v123, v[2:3], v[6:7] offset0:40 offset1:50
	v_pk_add_f32 v[0:1], v[0:1], v[48:49] neg_lo:[0,1] neg_hi:[0,1]
	v_pk_add_f32 v[2:3], v[88:89], v[62:63] neg_lo:[0,1] neg_hi:[0,1]
	v_pk_add_f32 v[90:91], v[88:89], v[62:63]
	v_pk_add_f32 v[10:11], v[8:9], v[4:5]
	ds_write2_b64 v123, v[0:1], v[2:3] offset0:60 offset1:70
	v_pk_add_f32 v[0:1], v[8:9], v[4:5] neg_lo:[0,1] neg_hi:[0,1]
	ds_write2_b64 v123, v[90:91], v[10:11] offset0:20 offset1:30
	ds_write2_b64 v123, v[0:1], v[54:55] offset0:80 offset1:90
	s_waitcnt lgkmcnt(0)
	s_barrier
	ds_read2_b64 v[8:11], v75 offset1:90
	ds_read2_b64 v[0:3], v125 offset0:52 offset1:172
	ds_read2_b64 v[12:15], v155 offset0:88 offset1:178
	;; [unrolled: 1-line block ×3, first 2 shown]
	ds_read_b64 v[48:49], v75 offset:6240
	s_and_saveexec_b64 s[2:3], s[0:1]
	s_xor_b64 s[2:3], exec, s[2:3]
	s_or_saveexec_b64 s[2:3], s[2:3]
	v_mov_b32_e32 v90, v16
	v_mov_b32_e32 v91, v16
	;; [unrolled: 1-line block ×18, first 2 shown]
	s_xor_b64 exec, exec, s[2:3]
	s_cbranch_execz .LBB0_11
; %bb.10:
	ds_read_b64 v[92:93], v75 offset:4560
	ds_read_b64 v[50:51], v75 offset:6960
	;; [unrolled: 1-line block ×3, first 2 shown]
	s_waitcnt lgkmcnt(2)
	v_mov_b32_e32 v52, v92
	s_waitcnt lgkmcnt(1)
	v_mov_b32_e32 v53, v51
	v_mov_b32_e32 v51, v93
.LBB0_11:
	s_or_b64 exec, exec, s[2:3]
	s_waitcnt lgkmcnt(3)
	v_pk_mul_f32 v[92:93], v[16:17], v[2:3]
	v_pk_mul_f32 v[16:17], v[24:25], v[50:51] op_sel:[0,1]
	s_waitcnt lgkmcnt(2)
	v_pk_mul_f32 v[94:95], v[18:19], v[12:13]
	s_waitcnt lgkmcnt(1)
	v_pk_mul_f32 v[96:97], v[20:21], v[4:5]
	v_pk_mul_f32 v[18:19], v[26:27], v[52:53] op_sel:[0,1]
	v_pk_fma_f32 v[20:21], v[24:25], v[52:53], v[16:17] op_sel:[0,0,1] op_sel_hi:[1,1,0]
	v_pk_fma_f32 v[16:17], v[24:25], v[52:53], v[16:17] op_sel:[0,0,1] op_sel_hi:[1,0,0] neg_lo:[1,0,0] neg_hi:[1,0,0]
	v_pk_fma_f32 v[24:25], v[26:27], v[50:51], v[18:19] op_sel:[0,0,1] op_sel_hi:[1,1,0]
	v_mov_b32_e32 v21, v17
	v_pk_fma_f32 v[16:17], v[26:27], v[50:51], v[18:19] op_sel:[0,0,1] op_sel_hi:[1,0,0] neg_lo:[1,0,0] neg_hi:[1,0,0]
	s_mov_b32 s2, 0x3f5db3d7
	v_mov_b32_e32 v25, v17
	s_waitcnt lgkmcnt(0)
	v_pk_add_f32 v[16:17], v[54:55], v[20:21]
	v_pk_add_f32 v[18:19], v[20:21], v[24:25]
	;; [unrolled: 1-line block ×3, first 2 shown]
	v_pk_fma_f32 v[26:27], v[18:19], 0.5, v[54:55] op_sel_hi:[1,0,1] neg_lo:[1,0,0] neg_hi:[1,0,0]
	v_pk_add_f32 v[18:19], v[20:21], v[24:25] neg_lo:[0,1] neg_hi:[0,1]
	v_pk_fma_f32 v[24:25], v[90:91], v[2:3], v[92:93] op_sel:[0,0,1] op_sel_hi:[1,1,0]
	v_pk_fma_f32 v[2:3], v[90:91], v[2:3], v[92:93] op_sel:[0,0,1] op_sel_hi:[1,1,0] neg_lo:[0,0,1] neg_hi:[0,0,1]
	v_pk_mul_f32 v[20:21], v[18:19], s[2:3] op_sel_hi:[1,0]
	v_mov_b32_e32 v25, v3
	v_pk_fma_f32 v[2:3], v[88:89], v[12:13], v[94:95] op_sel:[0,0,1] op_sel_hi:[1,1,0]
	v_pk_fma_f32 v[12:13], v[88:89], v[12:13], v[94:95] op_sel:[0,0,1] op_sel_hi:[1,1,0] neg_lo:[0,0,1] neg_hi:[0,0,1]
	v_pk_add_f32 v[18:19], v[20:21], v[26:27] op_sel:[1,0] op_sel_hi:[0,1]
	v_mov_b32_e32 v3, v13
	v_pk_add_f32 v[20:21], v[26:27], v[20:21] op_sel:[0,1] op_sel_hi:[1,0] neg_lo:[0,1] neg_hi:[0,1]
	v_pk_add_f32 v[12:13], v[24:25], v[2:3]
	v_pk_add_f32 v[26:27], v[24:25], v[2:3] neg_lo:[0,1] neg_hi:[0,1]
	v_pk_fma_f32 v[12:13], v[12:13], 0.5, v[8:9] op_sel_hi:[1,0,1] neg_lo:[1,0,0] neg_hi:[1,0,0]
	v_pk_mul_f32 v[26:27], v[26:27], s[2:3] op_sel_hi:[1,0]
	v_pk_add_f32 v[8:9], v[8:9], v[24:25]
	v_pk_add_f32 v[50:51], v[12:13], v[26:27] op_sel:[0,1] op_sel_hi:[1,0]
	v_pk_add_f32 v[12:13], v[12:13], v[26:27] op_sel:[0,1] op_sel_hi:[1,0] neg_lo:[0,1] neg_hi:[0,1]
	v_pk_add_f32 v[2:3], v[8:9], v[2:3]
	v_mov_b32_e32 v8, v12
	v_mov_b32_e32 v9, v51
	v_pk_mul_f32 v[22:23], v[22:23], v[14:15]
	s_barrier
	ds_write2_b64 v75, v[2:3], v[8:9] offset1:100
	v_pk_fma_f32 v[2:3], v[62:63], v[4:5], v[96:97] op_sel:[0,0,1] op_sel_hi:[1,1,0]
	v_pk_fma_f32 v[4:5], v[62:63], v[4:5], v[96:97] op_sel:[0,0,1] op_sel_hi:[1,1,0] neg_lo:[0,0,1] neg_hi:[0,0,1]
	v_pk_fma_f32 v[8:9], v[60:61], v[14:15], v[22:23] op_sel:[0,0,1] op_sel_hi:[1,1,0] neg_lo:[0,0,1] neg_hi:[0,0,1]
	v_mov_b32_e32 v3, v5
	v_pk_fma_f32 v[4:5], v[60:61], v[14:15], v[22:23] op_sel:[0,0,1] op_sel_hi:[1,1,0]
	v_mov_b32_e32 v51, v13
	v_mov_b32_e32 v5, v9
	v_pk_add_f32 v[8:9], v[10:11], v[2:3]
	v_pk_add_f32 v[12:13], v[2:3], v[4:5]
	v_pk_add_f32 v[2:3], v[2:3], v[4:5] neg_lo:[0,1] neg_hi:[0,1]
	v_pk_fma_f32 v[10:11], v[12:13], 0.5, v[10:11] op_sel_hi:[1,0,1] neg_lo:[1,0,0] neg_hi:[1,0,0]
	v_pk_mul_f32 v[2:3], v[2:3], s[2:3] op_sel_hi:[1,0]
	v_pk_add_f32 v[8:9], v[8:9], v[4:5]
	v_pk_add_f32 v[4:5], v[10:11], v[2:3] op_sel:[0,1] op_sel_hi:[1,0] neg_lo:[0,1] neg_hi:[0,1]
	v_pk_add_f32 v[2:3], v[10:11], v[2:3] op_sel:[0,1] op_sel_hi:[1,0]
	v_pk_mul_f32 v[28:29], v[28:29], v[6:7]
	v_mov_b32_e32 v11, v3
	v_mov_b32_e32 v3, v5
	v_pk_mul_f32 v[30:31], v[30:31], v[48:49]
	ds_write_b64 v75, v[50:51] offset:1600
	v_mov_b32_e32 v10, v4
	ds_write_b64 v124, v[2:3] offset:1600
	v_pk_fma_f32 v[2:3], v[58:59], v[6:7], v[28:29] op_sel:[0,0,1] op_sel_hi:[1,1,0]
	v_pk_fma_f32 v[4:5], v[58:59], v[6:7], v[28:29] op_sel:[0,0,1] op_sel_hi:[1,1,0] neg_lo:[0,0,1] neg_hi:[0,0,1]
	v_pk_fma_f32 v[6:7], v[56:57], v[48:49], v[30:31] op_sel:[0,0,1] op_sel_hi:[1,1,0] neg_lo:[0,0,1] neg_hi:[0,0,1]
	v_mov_b32_e32 v3, v5
	v_pk_fma_f32 v[4:5], v[56:57], v[48:49], v[30:31] op_sel:[0,0,1] op_sel_hi:[1,1,0]
	ds_write2_b64 v124, v[8:9], v[10:11] offset1:100
	v_mov_b32_e32 v5, v7
	v_pk_add_f32 v[6:7], v[2:3], v[4:5]
	v_pk_add_f32 v[8:9], v[2:3], v[4:5] neg_lo:[0,1] neg_hi:[0,1]
	v_pk_fma_f32 v[6:7], v[6:7], 0.5, v[0:1] op_sel_hi:[1,0,1] neg_lo:[1,0,0] neg_hi:[1,0,0]
	v_pk_mul_f32 v[8:9], v[8:9], s[2:3] op_sel_hi:[1,0]
	v_pk_add_f32 v[0:1], v[0:1], v[2:3]
	v_pk_add_f32 v[10:11], v[6:7], v[8:9] op_sel:[0,1] op_sel_hi:[1,0]
	v_pk_add_f32 v[6:7], v[6:7], v[8:9] op_sel:[0,1] op_sel_hi:[1,0] neg_lo:[0,1] neg_hi:[0,1]
	v_pk_add_f32 v[0:1], v[0:1], v[4:5]
	v_mov_b32_e32 v2, v6
	v_mov_b32_e32 v3, v11
	;; [unrolled: 1-line block ×3, first 2 shown]
	ds_write2_b64 v126, v[0:1], v[2:3] offset1:100
	ds_write_b64 v126, v[10:11] offset:1600
	s_and_saveexec_b64 s[2:3], vcc
	s_cbranch_execz .LBB0_13
; %bb.12:
	v_mov_b32_e32 v0, v20
	v_mov_b32_e32 v1, v19
	v_add_u32_e32 v2, 0x1000, v127
	ds_write2_b64 v2, v[16:17], v[0:1] offset0:88 offset1:188
	v_mov_b32_e32 v0, v18
	v_mov_b32_e32 v1, v21
	ds_write_b64 v127, v[0:1] offset:6400
.LBB0_13:
	s_or_b64 exec, exec, s[2:3]
	v_add_u32_e32 v4, 0x1000, v75
	s_waitcnt lgkmcnt(0)
	s_barrier
	v_add_u32_e32 v0, 0x400, v75
	ds_read2_b64 v[12:15], v4 offset0:88 offset1:178
	v_add_u32_e32 v4, 0x800, v75
	ds_read2_b64 v[8:11], v75 offset1:90
	ds_read2_b64 v[0:3], v0 offset0:52 offset1:172
	ds_read2_b64 v[4:7], v4 offset0:134 offset1:224
	ds_read_b64 v[22:23], v75 offset:6240
	s_and_saveexec_b64 s[2:3], s[0:1]
	s_xor_b64 s[0:1], exec, s[2:3]
	s_or_saveexec_b64 s[0:1], s[0:1]
	v_mov_b32_e32 v50, v36
	v_mov_b32_e32 v51, v36
	v_mov_b32_e32 v36, v37
	v_mov_b32_e32 v48, v38
	v_mov_b32_e32 v49, v38
	v_mov_b32_e32 v38, v39
	v_mov_b32_e32 v30, v40
	v_mov_b32_e32 v31, v40
	v_mov_b32_e32 v40, v41
	v_mov_b32_e32 v28, v42
	v_mov_b32_e32 v29, v42
	v_mov_b32_e32 v42, v43
	v_mov_b32_e32 v26, v44
	v_mov_b32_e32 v27, v44
	v_mov_b32_e32 v44, v45
	v_mov_b32_e32 v24, v46
	v_mov_b32_e32 v25, v46
	v_mov_b32_e32 v46, v47
	v_add_u32_e32 v52, 0x5a0, v75
	s_xor_b64 exec, exec, s[0:1]
	s_cbranch_execz .LBB0_15
; %bb.14:
	ds_read_b64 v[54:55], v75 offset:6960
	ds_read_b64 v[20:21], v75 offset:4560
	;; [unrolled: 1-line block ×3, first 2 shown]
	s_waitcnt lgkmcnt(2)
	v_mov_b32_e32 v18, v54
	s_waitcnt lgkmcnt(1)
	v_mov_b32_e32 v19, v21
	v_mov_b32_e32 v21, v55
.LBB0_15:
	s_or_b64 exec, exec, s[0:1]
	s_waitcnt lgkmcnt(2)
	v_pk_mul_f32 v[36:37], v[36:37], v[2:3]
	v_pk_mul_f32 v[38:39], v[38:39], v[12:13]
	v_pk_fma_f32 v[54:55], v[50:51], v[2:3], v[36:37] op_sel:[0,0,1] op_sel_hi:[1,1,0]
	v_pk_fma_f32 v[2:3], v[50:51], v[2:3], v[36:37] op_sel:[0,0,1] op_sel_hi:[1,1,0] neg_lo:[0,0,1] neg_hi:[0,0,1]
	s_mov_b32 s0, 0x3f5db3d7
	v_mov_b32_e32 v55, v3
	v_pk_fma_f32 v[2:3], v[48:49], v[12:13], v[38:39] op_sel:[0,0,1] op_sel_hi:[1,1,0]
	v_pk_fma_f32 v[12:13], v[48:49], v[12:13], v[38:39] op_sel:[0,0,1] op_sel_hi:[1,1,0] neg_lo:[0,0,1] neg_hi:[0,0,1]
	s_waitcnt lgkmcnt(1)
	v_pk_mul_f32 v[40:41], v[40:41], v[4:5]
	v_mov_b32_e32 v3, v13
	v_pk_add_f32 v[12:13], v[8:9], v[54:55]
	v_pk_mul_f32 v[42:43], v[42:43], v[14:15]
	v_pk_add_f32 v[12:13], v[12:13], v[2:3]
	ds_write_b64 v75, v[12:13]
	v_pk_add_f32 v[12:13], v[54:55], v[2:3]
	v_pk_add_f32 v[2:3], v[54:55], v[2:3] neg_lo:[0,1] neg_hi:[0,1]
	v_pk_fma_f32 v[8:9], v[12:13], 0.5, v[8:9] op_sel_hi:[1,0,1] neg_lo:[1,0,0] neg_hi:[1,0,0]
	v_pk_mul_f32 v[2:3], v[2:3], s[0:1] op_sel_hi:[1,0]
	v_pk_mul_f32 v[44:45], v[44:45], v[6:7]
	v_pk_add_f32 v[12:13], v[8:9], v[2:3] op_sel:[0,1] op_sel_hi:[1,0] neg_lo:[0,1] neg_hi:[0,1]
	v_pk_add_f32 v[2:3], v[8:9], v[2:3] op_sel:[0,1] op_sel_hi:[1,0]
	v_mov_b32_e32 v8, v12
	v_mov_b32_e32 v9, v3
	;; [unrolled: 1-line block ×3, first 2 shown]
	ds_write_b64 v67, v[2:3] offset:4800
	v_pk_fma_f32 v[2:3], v[30:31], v[4:5], v[40:41] op_sel:[0,0,1] op_sel_hi:[1,1,0]
	v_pk_fma_f32 v[4:5], v[30:31], v[4:5], v[40:41] op_sel:[0,0,1] op_sel_hi:[1,1,0] neg_lo:[0,0,1] neg_hi:[0,0,1]
	ds_write_b64 v67, v[8:9] offset:2400
	v_mov_b32_e32 v3, v5
	v_pk_fma_f32 v[4:5], v[28:29], v[14:15], v[42:43] op_sel:[0,0,1] op_sel_hi:[1,1,0]
	v_pk_fma_f32 v[8:9], v[28:29], v[14:15], v[42:43] op_sel:[0,0,1] op_sel_hi:[1,1,0] neg_lo:[0,0,1] neg_hi:[0,0,1]
	s_waitcnt lgkmcnt(3)
	v_pk_mul_f32 v[46:47], v[46:47], v[22:23]
	v_mov_b32_e32 v5, v9
	v_pk_add_f32 v[8:9], v[10:11], v[2:3]
	s_nop 0
	v_pk_add_f32 v[8:9], v[8:9], v[4:5]
	ds_write_b64 v75, v[8:9] offset:720
	v_pk_add_f32 v[8:9], v[2:3], v[4:5]
	v_pk_add_f32 v[2:3], v[2:3], v[4:5] neg_lo:[0,1] neg_hi:[0,1]
	v_pk_fma_f32 v[8:9], v[8:9], 0.5, v[10:11] op_sel_hi:[1,0,1] neg_lo:[1,0,0] neg_hi:[1,0,0]
	v_pk_mul_f32 v[2:3], v[2:3], s[0:1] op_sel_hi:[1,0]
	s_nop 0
	v_pk_add_f32 v[4:5], v[8:9], v[2:3] op_sel:[0,1] op_sel_hi:[1,0] neg_lo:[0,1] neg_hi:[0,1]
	v_pk_add_f32 v[2:3], v[8:9], v[2:3] op_sel:[0,1] op_sel_hi:[1,0]
	v_mov_b32_e32 v8, v4
	v_mov_b32_e32 v9, v3
	;; [unrolled: 1-line block ×3, first 2 shown]
	ds_write_b64 v67, v[2:3] offset:5520
	v_pk_fma_f32 v[2:3], v[26:27], v[6:7], v[44:45] op_sel:[0,0,1] op_sel_hi:[1,1,0]
	v_pk_fma_f32 v[4:5], v[26:27], v[6:7], v[44:45] op_sel:[0,0,1] op_sel_hi:[1,1,0] neg_lo:[0,0,1] neg_hi:[0,0,1]
	v_pk_fma_f32 v[6:7], v[24:25], v[22:23], v[46:47] op_sel:[0,0,1] op_sel_hi:[1,1,0] neg_lo:[0,0,1] neg_hi:[0,0,1]
	v_mov_b32_e32 v3, v5
	v_pk_fma_f32 v[4:5], v[24:25], v[22:23], v[46:47] op_sel:[0,0,1] op_sel_hi:[1,1,0]
	ds_write_b64 v67, v[8:9] offset:3120
	v_mov_b32_e32 v5, v7
	v_pk_add_f32 v[6:7], v[0:1], v[2:3]
	s_nop 0
	v_pk_add_f32 v[6:7], v[6:7], v[4:5]
	ds_write_b64 v75, v[6:7] offset:1440
	v_pk_add_f32 v[6:7], v[2:3], v[4:5]
	v_pk_add_f32 v[2:3], v[2:3], v[4:5] neg_lo:[0,1] neg_hi:[0,1]
	v_pk_fma_f32 v[0:1], v[6:7], 0.5, v[0:1] op_sel_hi:[1,0,1] neg_lo:[1,0,0] neg_hi:[1,0,0]
	v_pk_mul_f32 v[2:3], v[2:3], s[0:1] op_sel_hi:[1,0]
	s_nop 0
	v_pk_add_f32 v[4:5], v[0:1], v[2:3] op_sel:[0,1] op_sel_hi:[1,0] neg_lo:[0,1] neg_hi:[0,1]
	v_pk_add_f32 v[0:1], v[0:1], v[2:3] op_sel:[0,1] op_sel_hi:[1,0]
	v_mov_b32_e32 v2, v4
	v_mov_b32_e32 v3, v1
	;; [unrolled: 1-line block ×3, first 2 shown]
	ds_write_b64 v52, v[2:3] offset:2400
	ds_write_b64 v52, v[0:1] offset:4800
	s_and_saveexec_b64 s[2:3], vcc
	s_cbranch_execz .LBB0_17
; %bb.16:
	v_pk_mul_f32 v[0:1], v[32:33], v[18:19] op_sel:[0,1]
	v_pk_mul_f32 v[2:3], v[34:35], v[20:21] op_sel:[0,1]
	v_pk_fma_f32 v[4:5], v[32:33], v[20:21], v[0:1] op_sel:[0,0,1] op_sel_hi:[1,1,0]
	v_pk_fma_f32 v[0:1], v[32:33], v[20:21], v[0:1] op_sel:[0,0,1] op_sel_hi:[1,0,0] neg_lo:[1,0,0] neg_hi:[1,0,0]
	s_nop 0
	v_mov_b32_e32 v5, v1
	v_pk_fma_f32 v[0:1], v[34:35], v[18:19], v[2:3] op_sel:[0,0,1] op_sel_hi:[1,1,0]
	v_pk_fma_f32 v[2:3], v[34:35], v[18:19], v[2:3] op_sel:[0,0,1] op_sel_hi:[1,0,0] neg_lo:[1,0,0] neg_hi:[1,0,0]
	s_nop 0
	v_mov_b32_e32 v1, v3
	v_pk_add_f32 v[2:3], v[16:17], v[4:5]
	s_nop 0
	v_pk_add_f32 v[2:3], v[2:3], v[0:1]
	ds_write_b64 v75, v[2:3] offset:2160
	v_pk_add_f32 v[2:3], v[4:5], v[0:1]
	v_pk_add_f32 v[0:1], v[4:5], v[0:1] neg_lo:[0,1] neg_hi:[0,1]
	v_pk_fma_f32 v[2:3], -0.5, v[2:3], v[16:17] op_sel_hi:[0,1,1]
	v_pk_mul_f32 v[0:1], v[0:1], s[0:1] op_sel_hi:[1,0]
	s_nop 0
	v_pk_add_f32 v[4:5], v[2:3], v[0:1] op_sel:[0,1] op_sel_hi:[1,0] neg_lo:[0,1] neg_hi:[0,1]
	v_pk_add_f32 v[0:1], v[2:3], v[0:1] op_sel:[0,1] op_sel_hi:[1,0]
	v_mov_b32_e32 v2, v4
	v_mov_b32_e32 v3, v1
	;; [unrolled: 1-line block ×3, first 2 shown]
	ds_write_b64 v67, v[2:3] offset:4560
	ds_write_b64 v67, v[0:1] offset:6960
.LBB0_17:
	s_or_b64 exec, exec, s[2:3]
	s_waitcnt lgkmcnt(0)
	s_barrier
	ds_read2_b64 v[0:3], v75 offset1:90
	v_mad_u64_u32 v[6:7], s[0:1], s6, v74, 0
	v_mov_b32_e32 v8, v7
	v_mad_u64_u32 v[8:9], s[0:1], s7, v74, v[8:9]
	v_mov_b32_e32 v7, v8
	s_waitcnt lgkmcnt(0)
	v_mul_f32_e32 v8, v87, v1
	v_fmac_f32_e32 v8, v86, v0
	v_mul_f32_e32 v0, v87, v0
	s_mov_b32 s0, 0x789abcdf
	v_fma_f32 v0, v86, v1, -v0
	v_cvt_f64_f32_e32 v[8:9], v8
	s_mov_b32 s1, 0x3f523456
	v_cvt_f64_f32_e32 v[0:1], v0
	v_mul_f64 v[8:9], v[8:9], s[0:1]
	v_mul_f64 v[0:1], v[0:1], s[0:1]
	v_cvt_f32_f64_e32 v8, v[8:9]
	v_cvt_f32_f64_e32 v9, v[0:1]
	v_mad_u64_u32 v[0:1], s[2:3], s4, v66, 0
	v_mov_b32_e32 v10, v1
	v_mov_b32_e32 v4, s12
	;; [unrolled: 1-line block ×3, first 2 shown]
	v_mad_u64_u32 v[10:11], s[2:3], s5, v66, v[10:11]
	v_mov_b32_e32 v1, v10
	v_lshl_add_u64 v[4:5], v[6:7], 3, v[4:5]
	v_lshl_add_u64 v[4:5], v[0:1], 3, v[4:5]
	v_mul_f32_e32 v0, v85, v3
	v_fmac_f32_e32 v0, v84, v2
	v_cvt_f64_f32_e32 v[0:1], v0
	v_mul_f64 v[0:1], v[0:1], s[0:1]
	v_cvt_f32_f64_e32 v6, v[0:1]
	v_mul_f32_e32 v0, v85, v2
	v_fma_f32 v0, v84, v3, -v0
	v_cvt_f64_f32_e32 v[0:1], v0
	v_mul_f64 v[0:1], v[0:1], s[0:1]
	v_cvt_f32_f64_e32 v7, v[0:1]
	v_add_u32_e32 v0, 0x400, v75
	ds_read2_b64 v[0:3], v0 offset0:52 offset1:142
	global_store_dwordx2 v[4:5], v[8:9], off
	v_mov_b32_e32 v8, 0x2d0
	v_mad_u64_u32 v[4:5], s[2:3], s4, v8, v[4:5]
	s_mulk_i32 s5, 0x2d0
	v_add_u32_e32 v5, s5, v5
	global_store_dwordx2 v[4:5], v[6:7], off
	s_waitcnt lgkmcnt(0)
	v_mul_f32_e32 v6, v83, v1
	v_fmac_f32_e32 v6, v82, v0
	v_mul_f32_e32 v0, v83, v0
	v_fma_f32 v0, v82, v1, -v0
	v_cvt_f64_f32_e32 v[6:7], v6
	v_cvt_f64_f32_e32 v[0:1], v0
	v_mul_f64 v[6:7], v[6:7], s[0:1]
	v_mul_f64 v[0:1], v[0:1], s[0:1]
	v_cvt_f32_f64_e32 v6, v[6:7]
	v_cvt_f32_f64_e32 v7, v[0:1]
	v_mul_f32_e32 v0, v79, v3
	v_fmac_f32_e32 v0, v78, v2
	v_mad_u64_u32 v[4:5], s[2:3], s4, v8, v[4:5]
	v_cvt_f64_f32_e32 v[0:1], v0
	v_add_u32_e32 v5, s5, v5
	v_mul_f64 v[0:1], v[0:1], s[0:1]
	global_store_dwordx2 v[4:5], v[6:7], off
	v_cvt_f32_f64_e32 v6, v[0:1]
	v_mul_f32_e32 v0, v79, v2
	v_fma_f32 v0, v78, v3, -v0
	v_cvt_f64_f32_e32 v[0:1], v0
	v_mul_f64 v[0:1], v[0:1], s[0:1]
	v_cvt_f32_f64_e32 v7, v[0:1]
	v_add_u32_e32 v0, 0x800, v75
	ds_read2_b64 v[0:3], v0 offset0:104 offset1:194
	v_mad_u64_u32 v[4:5], s[2:3], s4, v8, v[4:5]
	v_add_u32_e32 v5, s5, v5
	global_store_dwordx2 v[4:5], v[6:7], off
	s_waitcnt lgkmcnt(0)
	v_mul_f32_e32 v6, v81, v1
	v_fmac_f32_e32 v6, v80, v0
	v_mul_f32_e32 v0, v81, v0
	v_fma_f32 v0, v80, v1, -v0
	v_cvt_f64_f32_e32 v[6:7], v6
	v_cvt_f64_f32_e32 v[0:1], v0
	v_mul_f64 v[6:7], v[6:7], s[0:1]
	v_mul_f64 v[0:1], v[0:1], s[0:1]
	v_cvt_f32_f64_e32 v6, v[6:7]
	v_cvt_f32_f64_e32 v7, v[0:1]
	v_mul_f32_e32 v0, v77, v3
	v_fmac_f32_e32 v0, v76, v2
	v_mad_u64_u32 v[4:5], s[2:3], s4, v8, v[4:5]
	v_cvt_f64_f32_e32 v[0:1], v0
	v_add_u32_e32 v5, s5, v5
	v_mul_f64 v[0:1], v[0:1], s[0:1]
	global_store_dwordx2 v[4:5], v[6:7], off
	v_cvt_f32_f64_e32 v6, v[0:1]
	v_mul_f32_e32 v0, v77, v2
	v_fma_f32 v0, v76, v3, -v0
	v_cvt_f64_f32_e32 v[0:1], v0
	v_mul_f64 v[0:1], v[0:1], s[0:1]
	v_cvt_f32_f64_e32 v7, v[0:1]
	v_add_u32_e32 v0, 0x1000, v75
	ds_read2_b64 v[0:3], v0 offset0:28 offset1:118
	v_mad_u64_u32 v[4:5], s[2:3], s4, v8, v[4:5]
	;; [unrolled: 29-line block ×3, first 2 shown]
	v_add_u32_e32 v5, s5, v5
	global_store_dwordx2 v[4:5], v[6:7], off
	s_waitcnt lgkmcnt(0)
	v_mul_f32_e32 v6, v69, v1
	v_fmac_f32_e32 v6, v68, v0
	v_mul_f32_e32 v0, v69, v0
	v_fma_f32 v0, v68, v1, -v0
	v_cvt_f64_f32_e32 v[6:7], v6
	v_cvt_f64_f32_e32 v[0:1], v0
	v_mul_f64 v[6:7], v[6:7], s[0:1]
	v_mul_f64 v[0:1], v[0:1], s[0:1]
	v_cvt_f32_f64_e32 v6, v[6:7]
	v_cvt_f32_f64_e32 v7, v[0:1]
	v_mad_u64_u32 v[0:1], s[2:3], s4, v8, v[4:5]
	v_mul_f32_e32 v4, v65, v3
	v_fmac_f32_e32 v4, v64, v2
	v_mul_f32_e32 v2, v65, v2
	v_fma_f32 v2, v64, v3, -v2
	v_add_u32_e32 v1, s5, v1
	v_cvt_f64_f32_e32 v[4:5], v4
	v_cvt_f64_f32_e32 v[2:3], v2
	global_store_dwordx2 v[0:1], v[6:7], off
	v_mul_f64 v[4:5], v[4:5], s[0:1]
	v_mul_f64 v[2:3], v[2:3], s[0:1]
	v_mad_u64_u32 v[0:1], s[0:1], s4, v8, v[0:1]
	v_cvt_f32_f64_e32 v4, v[4:5]
	v_cvt_f32_f64_e32 v5, v[2:3]
	v_add_u32_e32 v1, s5, v1
	global_store_dwordx2 v[0:1], v[4:5], off
.LBB0_18:
	s_endpgm
	.section	.rodata,"a",@progbits
	.p2align	6, 0x0
	.amdhsa_kernel bluestein_single_fwd_len900_dim1_sp_op_CI_CI
		.amdhsa_group_segment_fixed_size 14400
		.amdhsa_private_segment_fixed_size 0
		.amdhsa_kernarg_size 104
		.amdhsa_user_sgpr_count 2
		.amdhsa_user_sgpr_dispatch_ptr 0
		.amdhsa_user_sgpr_queue_ptr 0
		.amdhsa_user_sgpr_kernarg_segment_ptr 1
		.amdhsa_user_sgpr_dispatch_id 0
		.amdhsa_user_sgpr_kernarg_preload_length 0
		.amdhsa_user_sgpr_kernarg_preload_offset 0
		.amdhsa_user_sgpr_private_segment_size 0
		.amdhsa_uses_dynamic_stack 0
		.amdhsa_enable_private_segment 0
		.amdhsa_system_sgpr_workgroup_id_x 1
		.amdhsa_system_sgpr_workgroup_id_y 0
		.amdhsa_system_sgpr_workgroup_id_z 0
		.amdhsa_system_sgpr_workgroup_info 0
		.amdhsa_system_vgpr_workitem_id 0
		.amdhsa_next_free_vgpr 159
		.amdhsa_next_free_sgpr 24
		.amdhsa_accum_offset 160
		.amdhsa_reserve_vcc 1
		.amdhsa_float_round_mode_32 0
		.amdhsa_float_round_mode_16_64 0
		.amdhsa_float_denorm_mode_32 3
		.amdhsa_float_denorm_mode_16_64 3
		.amdhsa_dx10_clamp 1
		.amdhsa_ieee_mode 1
		.amdhsa_fp16_overflow 0
		.amdhsa_tg_split 0
		.amdhsa_exception_fp_ieee_invalid_op 0
		.amdhsa_exception_fp_denorm_src 0
		.amdhsa_exception_fp_ieee_div_zero 0
		.amdhsa_exception_fp_ieee_overflow 0
		.amdhsa_exception_fp_ieee_underflow 0
		.amdhsa_exception_fp_ieee_inexact 0
		.amdhsa_exception_int_div_zero 0
	.end_amdhsa_kernel
	.text
.Lfunc_end0:
	.size	bluestein_single_fwd_len900_dim1_sp_op_CI_CI, .Lfunc_end0-bluestein_single_fwd_len900_dim1_sp_op_CI_CI
                                        ; -- End function
	.section	.AMDGPU.csdata,"",@progbits
; Kernel info:
; codeLenInByte = 10408
; NumSgprs: 30
; NumVgprs: 159
; NumAgprs: 0
; TotalNumVgprs: 159
; ScratchSize: 0
; MemoryBound: 0
; FloatMode: 240
; IeeeMode: 1
; LDSByteSize: 14400 bytes/workgroup (compile time only)
; SGPRBlocks: 3
; VGPRBlocks: 19
; NumSGPRsForWavesPerEU: 30
; NumVGPRsForWavesPerEU: 159
; AccumOffset: 160
; Occupancy: 3
; WaveLimiterHint : 1
; COMPUTE_PGM_RSRC2:SCRATCH_EN: 0
; COMPUTE_PGM_RSRC2:USER_SGPR: 2
; COMPUTE_PGM_RSRC2:TRAP_HANDLER: 0
; COMPUTE_PGM_RSRC2:TGID_X_EN: 1
; COMPUTE_PGM_RSRC2:TGID_Y_EN: 0
; COMPUTE_PGM_RSRC2:TGID_Z_EN: 0
; COMPUTE_PGM_RSRC2:TIDIG_COMP_CNT: 0
; COMPUTE_PGM_RSRC3_GFX90A:ACCUM_OFFSET: 39
; COMPUTE_PGM_RSRC3_GFX90A:TG_SPLIT: 0
	.text
	.p2alignl 6, 3212836864
	.fill 256, 4, 3212836864
	.type	__hip_cuid_26c447d592ada1a4,@object ; @__hip_cuid_26c447d592ada1a4
	.section	.bss,"aw",@nobits
	.globl	__hip_cuid_26c447d592ada1a4
__hip_cuid_26c447d592ada1a4:
	.byte	0                               ; 0x0
	.size	__hip_cuid_26c447d592ada1a4, 1

	.ident	"AMD clang version 19.0.0git (https://github.com/RadeonOpenCompute/llvm-project roc-6.4.0 25133 c7fe45cf4b819c5991fe208aaa96edf142730f1d)"
	.section	".note.GNU-stack","",@progbits
	.addrsig
	.addrsig_sym __hip_cuid_26c447d592ada1a4
	.amdgpu_metadata
---
amdhsa.kernels:
  - .agpr_count:     0
    .args:
      - .actual_access:  read_only
        .address_space:  global
        .offset:         0
        .size:           8
        .value_kind:     global_buffer
      - .actual_access:  read_only
        .address_space:  global
        .offset:         8
        .size:           8
        .value_kind:     global_buffer
      - .actual_access:  read_only
        .address_space:  global
        .offset:         16
        .size:           8
        .value_kind:     global_buffer
      - .actual_access:  read_only
        .address_space:  global
        .offset:         24
        .size:           8
        .value_kind:     global_buffer
      - .actual_access:  read_only
        .address_space:  global
        .offset:         32
        .size:           8
        .value_kind:     global_buffer
      - .offset:         40
        .size:           8
        .value_kind:     by_value
      - .address_space:  global
        .offset:         48
        .size:           8
        .value_kind:     global_buffer
      - .address_space:  global
        .offset:         56
        .size:           8
        .value_kind:     global_buffer
      - .address_space:  global
        .offset:         64
        .size:           8
        .value_kind:     global_buffer
      - .address_space:  global
        .offset:         72
        .size:           8
        .value_kind:     global_buffer
      - .offset:         80
        .size:           4
        .value_kind:     by_value
      - .address_space:  global
        .offset:         88
        .size:           8
        .value_kind:     global_buffer
      - .address_space:  global
        .offset:         96
        .size:           8
        .value_kind:     global_buffer
    .group_segment_fixed_size: 14400
    .kernarg_segment_align: 8
    .kernarg_segment_size: 104
    .language:       OpenCL C
    .language_version:
      - 2
      - 0
    .max_flat_workgroup_size: 180
    .name:           bluestein_single_fwd_len900_dim1_sp_op_CI_CI
    .private_segment_fixed_size: 0
    .sgpr_count:     30
    .sgpr_spill_count: 0
    .symbol:         bluestein_single_fwd_len900_dim1_sp_op_CI_CI.kd
    .uniform_work_group_size: 1
    .uses_dynamic_stack: false
    .vgpr_count:     159
    .vgpr_spill_count: 0
    .wavefront_size: 64
amdhsa.target:   amdgcn-amd-amdhsa--gfx950
amdhsa.version:
  - 1
  - 2
...

	.end_amdgpu_metadata
